;; amdgpu-corpus repo=pytorch/pytorch kind=compiled arch=gfx90a opt=O3
	.text
	.amdgcn_target "amdgcn-amd-amdhsa--gfx90a"
	.amdhsa_code_object_version 6
	.section	.text._ZN2at6native12_GLOBAL__N_143distribution_elementwise_grid_stride_kernelIdLi2EZNS0_9templates4cuda21uniform_and_transformIddPNS_17CUDAGeneratorImplEZZZNS4_14uniform_kernelIS7_EEvRNS_18TensorIteratorBaseEddT_ENKUlvE_clEvENKUlvE_clEvEUldE_EEvSA_T1_T2_EUlP25hiprandStatePhilox4_32_10E_ZNS1_27distribution_nullary_kernelIdd15HIP_vector_typeIdLj2EES7_SJ_SE_EEvSA_SG_RKT3_T4_EUlidE_EEvlNS_15PhiloxCudaStateESF_SG_,"axG",@progbits,_ZN2at6native12_GLOBAL__N_143distribution_elementwise_grid_stride_kernelIdLi2EZNS0_9templates4cuda21uniform_and_transformIddPNS_17CUDAGeneratorImplEZZZNS4_14uniform_kernelIS7_EEvRNS_18TensorIteratorBaseEddT_ENKUlvE_clEvENKUlvE_clEvEUldE_EEvSA_T1_T2_EUlP25hiprandStatePhilox4_32_10E_ZNS1_27distribution_nullary_kernelIdd15HIP_vector_typeIdLj2EES7_SJ_SE_EEvSA_SG_RKT3_T4_EUlidE_EEvlNS_15PhiloxCudaStateESF_SG_,comdat
	.globl	_ZN2at6native12_GLOBAL__N_143distribution_elementwise_grid_stride_kernelIdLi2EZNS0_9templates4cuda21uniform_and_transformIddPNS_17CUDAGeneratorImplEZZZNS4_14uniform_kernelIS7_EEvRNS_18TensorIteratorBaseEddT_ENKUlvE_clEvENKUlvE_clEvEUldE_EEvSA_T1_T2_EUlP25hiprandStatePhilox4_32_10E_ZNS1_27distribution_nullary_kernelIdd15HIP_vector_typeIdLj2EES7_SJ_SE_EEvSA_SG_RKT3_T4_EUlidE_EEvlNS_15PhiloxCudaStateESF_SG_ ; -- Begin function _ZN2at6native12_GLOBAL__N_143distribution_elementwise_grid_stride_kernelIdLi2EZNS0_9templates4cuda21uniform_and_transformIddPNS_17CUDAGeneratorImplEZZZNS4_14uniform_kernelIS7_EEvRNS_18TensorIteratorBaseEddT_ENKUlvE_clEvENKUlvE_clEvEUldE_EEvSA_T1_T2_EUlP25hiprandStatePhilox4_32_10E_ZNS1_27distribution_nullary_kernelIdd15HIP_vector_typeIdLj2EES7_SJ_SE_EEvSA_SG_RKT3_T4_EUlidE_EEvlNS_15PhiloxCudaStateESF_SG_
	.p2align	8
	.type	_ZN2at6native12_GLOBAL__N_143distribution_elementwise_grid_stride_kernelIdLi2EZNS0_9templates4cuda21uniform_and_transformIddPNS_17CUDAGeneratorImplEZZZNS4_14uniform_kernelIS7_EEvRNS_18TensorIteratorBaseEddT_ENKUlvE_clEvENKUlvE_clEvEUldE_EEvSA_T1_T2_EUlP25hiprandStatePhilox4_32_10E_ZNS1_27distribution_nullary_kernelIdd15HIP_vector_typeIdLj2EES7_SJ_SE_EEvSA_SG_RKT3_T4_EUlidE_EEvlNS_15PhiloxCudaStateESF_SG_,@function
_ZN2at6native12_GLOBAL__N_143distribution_elementwise_grid_stride_kernelIdLi2EZNS0_9templates4cuda21uniform_and_transformIddPNS_17CUDAGeneratorImplEZZZNS4_14uniform_kernelIS7_EEvRNS_18TensorIteratorBaseEddT_ENKUlvE_clEvENKUlvE_clEvEUldE_EEvSA_T1_T2_EUlP25hiprandStatePhilox4_32_10E_ZNS1_27distribution_nullary_kernelIdd15HIP_vector_typeIdLj2EES7_SJ_SE_EEvSA_SG_RKT3_T4_EUlidE_EEvlNS_15PhiloxCudaStateESF_SG_: ; @_ZN2at6native12_GLOBAL__N_143distribution_elementwise_grid_stride_kernelIdLi2EZNS0_9templates4cuda21uniform_and_transformIddPNS_17CUDAGeneratorImplEZZZNS4_14uniform_kernelIS7_EEvRNS_18TensorIteratorBaseEddT_ENKUlvE_clEvENKUlvE_clEvEUldE_EEvSA_T1_T2_EUlP25hiprandStatePhilox4_32_10E_ZNS1_27distribution_nullary_kernelIdd15HIP_vector_typeIdLj2EES7_SJ_SE_EEvSA_SG_RKT3_T4_EUlidE_EEvlNS_15PhiloxCudaStateESF_SG_
; %bb.0:
	s_load_dword s7, s[4:5], 0x20
	s_load_dwordx2 s[10:11], s[4:5], 0x10
	s_load_dwordx4 s[0:3], s[4:5], 0x0
	s_mov_b32 s8, 0
	s_waitcnt lgkmcnt(0)
	s_bitcmp0_b32 s7, 0
	v_pk_mov_b32 v[2:3], s[10:11], s[10:11] op_sel:[0,1]
	v_pk_mov_b32 v[14:15], s[2:3], s[2:3] op_sel:[0,1]
	s_cbranch_scc1 .LBB0_2
; %bb.1:
	v_pk_mov_b32 v[2:3], s[10:11], s[10:11] op_sel:[0,1]
	flat_load_dwordx2 v[2:3], v[2:3]
	v_pk_mov_b32 v[4:5], s[2:3], s[2:3] op_sel:[0,1]
	flat_load_dwordx2 v[14:15], v[4:5]
	s_load_dwordx2 s[2:3], s[4:5], 0x18
	s_waitcnt lgkmcnt(0)
	v_mov_b32_e32 v1, s3
	s_waitcnt vmcnt(0)
	v_add_co_u32_e32 v2, vcc, s2, v2
	v_addc_co_u32_e32 v3, vcc, v3, v1, vcc
.LBB0_2:
	s_load_dword s2, s[4:5], 0x64
	s_load_dword s16, s[4:5], 0x58
	s_waitcnt lgkmcnt(0)
	s_and_b32 s7, s2, 0xffff
	s_add_u32 s10, s0, -1
	s_mul_i32 s18, s16, s7
	s_addc_u32 s9, s1, -1
	s_lshl_b32 s19, s18, 1
	s_cmp_lg_u64 s[8:9], 0
	s_mov_b64 s[2:3], -1
	s_cbranch_scc0 .LBB0_23
; %bb.3:
	v_cvt_f32_u32_e32 v1, s19
	v_cvt_f32_ubyte0_e32 v4, 0
	s_sub_u32 s8, 0, s19
	s_subb_u32 s11, 0, 0
	v_madmk_f32 v1, v4, 0x4f800000, v1
	v_rcp_f32_e32 v1, v1
	v_mul_f32_e32 v1, 0x5f7ffffc, v1
	v_mul_f32_e32 v4, 0x2f800000, v1
	v_trunc_f32_e32 v4, v4
	v_madmk_f32 v1, v4, 0xcf800000, v1
	v_cvt_u32_f32_e32 v4, v4
	v_cvt_u32_f32_e32 v1, v1
	v_readfirstlane_b32 s12, v4
	v_readfirstlane_b32 s13, v1
	s_mul_i32 s14, s8, s12
	s_mul_hi_u32 s17, s8, s13
	s_mul_i32 s15, s11, s13
	s_add_i32 s14, s17, s14
	s_add_i32 s14, s14, s15
	s_mul_i32 s20, s8, s13
	s_mul_hi_u32 s15, s13, s14
	s_mul_i32 s17, s13, s14
	s_mul_hi_u32 s13, s13, s20
	s_add_u32 s13, s13, s17
	s_addc_u32 s15, 0, s15
	s_mul_hi_u32 s21, s12, s20
	s_mul_i32 s20, s12, s20
	s_add_u32 s13, s13, s20
	s_mul_hi_u32 s17, s12, s14
	s_addc_u32 s13, s15, s21
	s_addc_u32 s15, s17, 0
	s_mul_i32 s14, s12, s14
	s_add_u32 s13, s13, s14
	s_addc_u32 s14, 0, s15
	v_add_co_u32_e32 v1, vcc, s13, v1
	s_cmp_lg_u64 vcc, 0
	s_addc_u32 s12, s12, s14
	v_readfirstlane_b32 s14, v1
	s_mul_i32 s13, s8, s12
	s_mul_hi_u32 s15, s8, s14
	s_add_i32 s13, s15, s13
	s_mul_i32 s11, s11, s14
	s_add_i32 s13, s13, s11
	s_mul_i32 s8, s8, s14
	s_mul_hi_u32 s15, s12, s8
	s_mul_i32 s17, s12, s8
	s_mul_i32 s21, s14, s13
	s_mul_hi_u32 s8, s14, s8
	s_mul_hi_u32 s20, s14, s13
	s_add_u32 s8, s8, s21
	s_addc_u32 s14, 0, s20
	s_add_u32 s8, s8, s17
	s_mul_hi_u32 s11, s12, s13
	s_addc_u32 s8, s14, s15
	s_addc_u32 s11, s11, 0
	s_mul_i32 s13, s12, s13
	s_add_u32 s8, s8, s13
	s_addc_u32 s11, 0, s11
	v_add_co_u32_e32 v1, vcc, s8, v1
	s_cmp_lg_u64 vcc, 0
	s_addc_u32 s11, s12, s11
	s_ashr_i32 s12, s9, 31
	s_add_u32 s8, s10, s12
	s_mov_b32 s13, s12
	s_addc_u32 s9, s9, s12
	s_xor_b64 s[8:9], s[8:9], s[12:13]
	v_readfirstlane_b32 s17, v1
	s_mul_i32 s15, s8, s11
	s_mul_hi_u32 s20, s8, s17
	s_mul_hi_u32 s14, s8, s11
	s_add_u32 s15, s20, s15
	s_addc_u32 s14, 0, s14
	s_mul_hi_u32 s21, s9, s17
	s_mul_i32 s17, s9, s17
	s_add_u32 s15, s15, s17
	s_mul_hi_u32 s20, s9, s11
	s_addc_u32 s14, s14, s21
	s_addc_u32 s15, s20, 0
	s_mul_i32 s11, s9, s11
	s_add_u32 s11, s14, s11
	s_addc_u32 s14, 0, s15
	s_add_u32 s15, s11, 1
	s_addc_u32 s17, s14, 0
	s_add_u32 s20, s11, 2
	s_mul_i32 s22, s19, s14
	s_mul_hi_u32 s23, s19, s11
	s_addc_u32 s21, s14, 0
	s_add_i32 s23, s23, s22
	s_mul_i32 s22, s19, s11
	v_mov_b32_e32 v1, s22
	v_sub_co_u32_e32 v1, vcc, s8, v1
	s_cmp_lg_u64 vcc, 0
	s_subb_u32 s8, s9, s23
	v_subrev_co_u32_e32 v4, vcc, s19, v1
	s_cmp_lg_u64 vcc, 0
	s_subb_u32 s9, s8, 0
	v_readfirstlane_b32 s22, v4
	s_cmp_ge_u32 s22, s19
	s_cselect_b32 s22, -1, 0
	s_cmp_eq_u32 s9, 0
	s_cselect_b32 s9, s22, -1
	s_cmp_lg_u32 s9, 0
	s_cselect_b32 s9, s21, s17
	v_readfirstlane_b32 s17, v1
	s_cselect_b32 s15, s20, s15
	s_cmp_ge_u32 s17, s19
	s_cselect_b32 s17, -1, 0
	s_cmp_eq_u32 s8, 0
	s_cselect_b32 s8, s17, -1
	s_cmp_lg_u32 s8, 0
	s_cselect_b32 s9, s9, s14
	s_cselect_b32 s8, s15, s11
	s_xor_b64 s[8:9], s[8:9], s[12:13]
	s_sub_u32 s8, s8, s12
	s_subb_u32 s9, s9, s12
	s_cbranch_execnz .LBB0_5
.LBB0_4:
	v_cvt_f32_u32_e32 v1, s19
	s_sub_i32 s2, 0, s19
	s_mov_b32 s9, 0
	v_rcp_iflag_f32_e32 v1, v1
	v_mul_f32_e32 v1, 0x4f7ffffe, v1
	v_cvt_u32_f32_e32 v1, v1
	v_readfirstlane_b32 s3, v1
	s_mul_i32 s2, s2, s3
	s_mul_hi_u32 s2, s3, s2
	s_add_i32 s3, s3, s2
	s_mul_hi_u32 s2, s10, s3
	s_mul_i32 s8, s2, s19
	s_sub_i32 s8, s10, s8
	s_add_i32 s3, s2, 1
	s_sub_i32 s10, s8, s19
	s_cmp_ge_u32 s8, s19
	s_cselect_b32 s2, s3, s2
	s_cselect_b32 s8, s10, s8
	s_add_i32 s3, s2, 1
	s_cmp_ge_u32 s8, s19
	s_cselect_b32 s8, s3, s2
.LBB0_5:
	v_mov_b32_e32 v1, 0
	v_mov_b32_e32 v4, s6
	v_mad_u64_u32 v[16:17], s[2:3], s7, v4, v[0:1]
	s_add_u32 s2, s8, 1
	s_addc_u32 s3, s9, 0
	s_mul_hi_u32 s8, s16, s7
	s_mul_i32 s3, s18, s3
	s_mul_hi_u32 s9, s18, s2
	s_add_i32 s3, s9, s3
	s_mul_i32 s8, s8, s2
	s_add_i32 s3, s3, s8
	s_mul_i32 s2, s18, s2
	s_lshl_b64 s[2:3], s[2:3], 1
	v_cmp_gt_i64_e32 vcc, s[2:3], v[16:17]
	s_and_saveexec_b64 s[8:9], vcc
	s_cbranch_execz .LBB0_22
; %bb.6:
	s_load_dwordx2 s[12:13], s[4:5], 0x50
	s_load_dwordx4 s[8:11], s[4:5], 0x40
	s_load_dwordx2 s[14:15], s[4:5], 0x30
	s_load_dword s17, s[4:5], 0x38
	v_mov_b32_e32 v4, v15
	s_mov_b32 s4, 0xdb3d7428
	v_add_co_u32_e32 v21, vcc, s4, v4
	s_mov_b32 s4, 0x5384540f
	v_add_co_u32_e32 v22, vcc, s4, v14
	;; [unrolled: 2-line block ×7, first 2 shown]
	s_mov_b32 s4, 0x9e3779b9
	v_alignbit_b32 v29, v3, v2, 2
	s_mov_b32 s21, 0xd2511f53
	v_add_co_u32_e32 v28, vcc, s4, v14
	v_mad_u64_u32 v[6:7], s[4:5], v29, s21, 0
	v_xor_b32_e32 v1, v7, v15
	v_xor_b32_e32 v1, v1, v17
	s_mov_b32 s22, 0xcd9e8d57
	v_mad_u64_u32 v[8:9], s[4:5], v1, s22, 0
	v_xor_b32_e32 v1, v28, v9
	v_mad_u64_u32 v[10:11], s[4:5], v16, s22, 0
	v_and_b32_e32 v18, 3, v2
	v_xor_b32_e32 v1, v1, v10
	v_xor_b32_e32 v2, v14, v11
	v_lshrrev_b32_e32 v30, 2, v3
	v_mad_u64_u32 v[12:13], s[4:5], v1, s21, 0
	v_xor_b32_e32 v2, v2, v30
	v_xor_b32_e32 v1, v27, v13
	v_mad_u64_u32 v[2:3], s[4:5], v2, s21, 0
	v_xor_b32_e32 v1, v1, v2
	v_mad_u64_u32 v[10:11], s[4:5], v1, s22, 0
	s_mov_b32 s4, 0xbb67ae85
	v_add_co_u32_e32 v31, vcc, s4, v4
	v_xor_b32_e32 v2, v31, v3
	v_xor_b32_e32 v2, v2, v6
	v_xor_b32_e32 v1, v26, v11
	v_mad_u64_u32 v[2:3], s[4:5], v2, s22, 0
	v_xor_b32_e32 v1, v1, v2
	v_mad_u64_u32 v[6:7], s[4:5], v1, s21, 0
	s_mov_b32 s4, 0x3c6ef372
	v_add_co_u32_e32 v32, vcc, s4, v14
	v_xor_b32_e32 v2, v32, v3
	;; [unrolled: 8-line block ×7, first 2 shown]
	v_xor_b32_e32 v1, v1, v12
	v_mad_u64_u32 v[2:3], s[4:5], v1, s22, 0
	s_mov_b32 s4, 0xf1bbcdc8
	v_add_u32_e32 v19, 0x8ff34781, v14
	v_xor_b32_e32 v1, v9, v2
	v_add_co_u32_e32 v38, vcc, s4, v14
	v_xor_b32_e32 v2, v19, v1
	v_xor_b32_e32 v1, v38, v3
	v_xor_b32_e32 v1, v1, v10
	v_mad_u64_u32 v[10:11], s[4:5], v1, s21, 0
	v_add_u32_e32 v20, 0x96a522ad, v15
	v_xor_b32_e32 v1, v11, v6
	s_mul_i32 s4, s6, s7
	v_xor_b32_e32 v4, v20, v1
	v_add_u32_e32 v1, s4, v0
	s_waitcnt lgkmcnt(0)
	s_mul_i32 s4, s16, s17
	s_mul_i32 s4, s4, s7
	s_lshl_b32 s23, s4, 1
	s_add_i32 s4, s6, s16
	s_mul_i32 s4, s4, s7
	s_mov_b32 s20, 0
	v_add_u32_e32 v0, s4, v0
	v_mov_b32_e32 v3, v8
	v_mov_b32_e32 v5, v10
	v_mul_lo_u32 v39, s17, v1
	v_mul_lo_u32 v40, s17, v0
	s_mov_b64 s[4:5], 0
	s_mov_b32 s24, s20
	v_mov_b32_e32 v41, v16
	v_mov_b32_e32 v42, v17
	s_branch .LBB0_8
.LBB0_7:                                ;   in Loop: Header=BB0_8 Depth=1
	s_or_b64 exec, exec, s[6:7]
	v_add_co_u32_e32 v16, vcc, s19, v16
	v_addc_co_u32_e32 v17, vcc, 0, v17, vcc
	v_mov_b32_e32 v9, v0
	s_add_i32 s24, s24, s23
	v_cmp_le_i64_e32 vcc, s[2:3], v[16:17]
	v_pk_mov_b32 v[2:3], v[6:7], v[6:7] op_sel:[0,1]
	s_or_b64 s[4:5], vcc, s[4:5]
	v_pk_mov_b32 v[4:5], v[8:9], v[8:9] op_sel:[0,1]
	s_barrier
	s_andn2_b64 exec, exec, s[4:5]
	s_cbranch_execz .LBB0_22
.LBB0_8:                                ; =>This Inner Loop Header: Depth=1
	v_add_co_u32_e32 v29, vcc, 1, v29
	v_cndmask_b32_e64 v0, 0, 1, vcc
	v_addc_co_u32_e32 v30, vcc, 0, v30, vcc
	v_cmp_eq_u32_e32 vcc, 0, v30
	v_cndmask_b32_e32 v0, 0, v0, vcc
	v_add_u32_e32 v41, v0, v41
	v_cmp_eq_u32_e32 vcc, 0, v41
	v_cndmask_b32_e32 v0, 0, v0, vcc
	v_add_u32_e32 v42, v0, v42
	v_mad_u64_u32 v[0:1], s[6:7], v29, s21, 0
	v_mad_u64_u32 v[6:7], s[6:7], v41, s22, 0
	v_xor_b32_e32 v1, v1, v15
	v_xor_b32_e32 v7, v7, v14
	v_xor_b32_e32 v1, v42, v1
	v_xor_b32_e32 v7, v30, v7
	v_mad_u64_u32 v[10:11], s[6:7], v1, s22, 0
	v_mad_u64_u32 v[8:9], s[6:7], v7, s21, 0
	v_xor_b32_e32 v1, v28, v11
	v_xor_b32_e32 v1, v1, v6
	v_xor_b32_e32 v6, v31, v9
	v_xor_b32_e32 v6, v6, v0
	v_mad_u64_u32 v[0:1], s[6:7], v1, s21, 0
	v_mad_u64_u32 v[6:7], s[6:7], v6, s22, 0
	v_xor_b32_e32 v1, v27, v1
	v_xor_b32_e32 v7, v32, v7
	v_xor_b32_e32 v1, v1, v8
	v_xor_b32_e32 v7, v7, v10
	v_mad_u64_u32 v[10:11], s[6:7], v1, s22, 0
	v_mad_u64_u32 v[8:9], s[6:7], v7, s21, 0
	v_xor_b32_e32 v1, v26, v11
	v_xor_b32_e32 v1, v1, v6
	v_xor_b32_e32 v6, v33, v9
	v_xor_b32_e32 v6, v6, v0
	v_mad_u64_u32 v[0:1], s[6:7], v1, s21, 0
	v_mad_u64_u32 v[6:7], s[6:7], v6, s22, 0
	v_xor_b32_e32 v1, v25, v1
	v_xor_b32_e32 v7, v34, v7
	v_xor_b32_e32 v1, v1, v8
	v_xor_b32_e32 v7, v7, v10
	v_mad_u64_u32 v[10:11], s[6:7], v1, s22, 0
	v_mad_u64_u32 v[8:9], s[6:7], v7, s21, 0
	v_xor_b32_e32 v1, v24, v11
	v_xor_b32_e32 v1, v1, v6
	v_xor_b32_e32 v6, v35, v9
	v_xor_b32_e32 v6, v6, v0
	v_mad_u64_u32 v[0:1], s[6:7], v1, s21, 0
	v_mad_u64_u32 v[6:7], s[6:7], v6, s22, 0
	v_xor_b32_e32 v1, v23, v1
	v_xor_b32_e32 v7, v36, v7
	v_xor_b32_e32 v1, v1, v8
	v_xor_b32_e32 v7, v7, v10
	v_mad_u64_u32 v[10:11], s[6:7], v1, s22, 0
	v_mad_u64_u32 v[8:9], s[6:7], v7, s21, 0
	v_xor_b32_e32 v1, v22, v11
	v_xor_b32_e32 v1, v1, v6
	v_xor_b32_e32 v6, v37, v9
	v_xor_b32_e32 v0, v6, v0
	v_mad_u64_u32 v[6:7], s[6:7], v0, s22, 0
	v_mad_u64_u32 v[44:45], s[6:7], v1, s21, 0
	v_xor_b32_e32 v0, v38, v7
	v_xor_b32_e32 v0, v0, v10
	v_xor_b32_e32 v1, v21, v45
	v_xor_b32_e32 v7, v1, v8
	v_mad_u64_u32 v[0:1], s[6:7], v0, s21, 0
	v_mad_u64_u32 v[12:13], s[6:7], v7, s22, 0
	v_xor_b32_e32 v1, v1, v44
	v_xor_b32_e32 v6, v13, v6
	v_xor_b32_e32 v13, v20, v1
	v_xor_b32_e32 v6, v19, v6
	v_mov_b32_e32 v7, v12
	v_mov_b32_e32 v8, v13
	v_cmp_lt_i32_e32 vcc, 1, v18
	s_and_saveexec_b64 s[6:7], vcc
	s_xor_b64 s[6:7], exec, s[6:7]
	s_cbranch_execnz .LBB0_14
; %bb.9:                                ;   in Loop: Header=BB0_8 Depth=1
	s_andn2_saveexec_b64 s[6:7], s[6:7]
	s_cbranch_execnz .LBB0_19
.LBB0_10:                               ;   in Loop: Header=BB0_8 Depth=1
	s_or_b64 exec, exec, s[6:7]
	v_cmp_gt_i64_e32 vcc, s[0:1], v[16:17]
	s_and_saveexec_b64 s[6:7], vcc
	s_cbranch_execz .LBB0_12
.LBB0_11:                               ;   in Loop: Header=BB0_8 Depth=1
	v_lshrrev_b32_e32 v1, 11, v3
	v_cvt_f64_u32_e32 v[10:11], v1
	v_ldexp_f64 v[10:11], v[10:11], 32
	v_cvt_f64_u32_e32 v[2:3], v2
	v_add_f64 v[2:3], v[10:11], v[2:3]
	v_mov_b32_e32 v10, 0
	v_mov_b32_e32 v11, 0x3ca00000
	v_add_u32_e32 v1, s24, v39
	v_fmac_f64_e32 v[10:11], 0x3ca00000, v[2:3]
	v_ashrrev_i32_e32 v3, 31, v1
	v_mov_b32_e32 v9, s15
	v_add_co_u32_e32 v2, vcc, s14, v1
	v_pk_mov_b32 v[12:13], s[10:11], s[10:11] op_sel:[0,1]
	v_addc_co_u32_e32 v3, vcc, v9, v3, vcc
	v_fma_f64 v[10:11], s[8:9], v[10:11], v[12:13]
	v_mov_b32_e32 v1, s11
	v_cmp_eq_f64_e32 vcc, s[12:13], v[10:11]
	v_cndmask_b32_e32 v11, v11, v1, vcc
	v_mov_b32_e32 v1, s10
	v_cndmask_b32_e32 v10, v10, v1, vcc
	global_store_dwordx2 v[2:3], v[10:11], off
.LBB0_12:                               ;   in Loop: Header=BB0_8 Depth=1
	s_or_b64 exec, exec, s[6:7]
	v_mov_b32_e32 v1, s20
	v_add_co_u32_e32 v2, vcc, s18, v16
	v_addc_co_u32_e32 v3, vcc, v1, v17, vcc
	v_cmp_gt_i64_e32 vcc, s[0:1], v[2:3]
	s_and_saveexec_b64 s[6:7], vcc
	s_cbranch_execz .LBB0_7
; %bb.13:                               ;   in Loop: Header=BB0_8 Depth=1
	v_lshrrev_b32_e32 v1, 11, v5
	v_cvt_f64_u32_e32 v[2:3], v1
	v_ldexp_f64 v[2:3], v[2:3], 32
	v_cvt_f64_u32_e32 v[4:5], v4
	v_add_f64 v[2:3], v[2:3], v[4:5]
	v_mov_b32_e32 v4, 0
	v_mov_b32_e32 v5, 0x3ca00000
	v_add_u32_e32 v1, s24, v40
	v_fmac_f64_e32 v[4:5], 0x3ca00000, v[2:3]
	v_ashrrev_i32_e32 v3, 31, v1
	v_mov_b32_e32 v9, s15
	v_add_co_u32_e32 v2, vcc, s14, v1
	v_pk_mov_b32 v[10:11], s[10:11], s[10:11] op_sel:[0,1]
	v_addc_co_u32_e32 v3, vcc, v9, v3, vcc
	v_fma_f64 v[4:5], s[8:9], v[4:5], v[10:11]
	v_mov_b32_e32 v1, s11
	v_cmp_eq_f64_e32 vcc, s[12:13], v[4:5]
	v_cndmask_b32_e32 v5, v5, v1, vcc
	v_mov_b32_e32 v1, s10
	v_cndmask_b32_e32 v4, v4, v1, vcc
	global_store_dwordx2 v[2:3], v[4:5], off
	s_branch .LBB0_7
.LBB0_14:                               ;   in Loop: Header=BB0_8 Depth=1
	v_cmp_lt_i32_e32 vcc, 2, v18
	s_and_saveexec_b64 s[16:17], vcc
	s_xor_b64 s[16:17], exec, s[16:17]
; %bb.15:                               ;   in Loop: Header=BB0_8 Depth=1
	v_mov_b32_e32 v10, v5
	v_mov_b32_e32 v11, v6
	v_pk_mov_b32 v[2:3], v[10:11], v[10:11] op_sel:[0,1]
	v_pk_mov_b32 v[4:5], v[12:13], v[12:13] op_sel:[0,1]
                                        ; implicit-def: $vgpr12_vgpr13
; %bb.16:                               ;   in Loop: Header=BB0_8 Depth=1
	s_andn2_saveexec_b64 s[16:17], s[16:17]
; %bb.17:                               ;   in Loop: Header=BB0_8 Depth=1
	v_mov_b32_e32 v2, v4
	v_mov_b32_e32 v3, v5
	;; [unrolled: 1-line block ×4, first 2 shown]
; %bb.18:                               ;   in Loop: Header=BB0_8 Depth=1
	s_or_b64 exec, exec, s[16:17]
	s_andn2_saveexec_b64 s[6:7], s[6:7]
	s_cbranch_execz .LBB0_10
.LBB0_19:                               ;   in Loop: Header=BB0_8 Depth=1
	v_cmp_eq_u32_e32 vcc, 1, v18
	s_and_saveexec_b64 s[16:17], vcc
; %bb.20:                               ;   in Loop: Header=BB0_8 Depth=1
	v_mov_b32_e32 v2, v3
	v_mov_b32_e32 v3, v4
	;; [unrolled: 1-line block ×4, first 2 shown]
; %bb.21:                               ;   in Loop: Header=BB0_8 Depth=1
	s_or_b64 exec, exec, s[16:17]
	s_or_b64 exec, exec, s[6:7]
	v_cmp_gt_i64_e32 vcc, s[0:1], v[16:17]
	s_and_saveexec_b64 s[6:7], vcc
	s_cbranch_execnz .LBB0_11
	s_branch .LBB0_12
.LBB0_22:
	s_endpgm
.LBB0_23:
                                        ; implicit-def: $sgpr8_sgpr9
	s_andn2_b64 vcc, exec, s[2:3]
	s_cbranch_vccz .LBB0_4
	s_branch .LBB0_5
	.section	.rodata,"a",@progbits
	.p2align	6, 0x0
	.amdhsa_kernel _ZN2at6native12_GLOBAL__N_143distribution_elementwise_grid_stride_kernelIdLi2EZNS0_9templates4cuda21uniform_and_transformIddPNS_17CUDAGeneratorImplEZZZNS4_14uniform_kernelIS7_EEvRNS_18TensorIteratorBaseEddT_ENKUlvE_clEvENKUlvE_clEvEUldE_EEvSA_T1_T2_EUlP25hiprandStatePhilox4_32_10E_ZNS1_27distribution_nullary_kernelIdd15HIP_vector_typeIdLj2EES7_SJ_SE_EEvSA_SG_RKT3_T4_EUlidE_EEvlNS_15PhiloxCudaStateESF_SG_
		.amdhsa_group_segment_fixed_size 0
		.amdhsa_private_segment_fixed_size 0
		.amdhsa_kernarg_size 344
		.amdhsa_user_sgpr_count 6
		.amdhsa_user_sgpr_private_segment_buffer 1
		.amdhsa_user_sgpr_dispatch_ptr 0
		.amdhsa_user_sgpr_queue_ptr 0
		.amdhsa_user_sgpr_kernarg_segment_ptr 1
		.amdhsa_user_sgpr_dispatch_id 0
		.amdhsa_user_sgpr_flat_scratch_init 0
		.amdhsa_user_sgpr_kernarg_preload_length 0
		.amdhsa_user_sgpr_kernarg_preload_offset 0
		.amdhsa_user_sgpr_private_segment_size 0
		.amdhsa_uses_dynamic_stack 0
		.amdhsa_system_sgpr_private_segment_wavefront_offset 0
		.amdhsa_system_sgpr_workgroup_id_x 1
		.amdhsa_system_sgpr_workgroup_id_y 0
		.amdhsa_system_sgpr_workgroup_id_z 0
		.amdhsa_system_sgpr_workgroup_info 0
		.amdhsa_system_vgpr_workitem_id 0
		.amdhsa_next_free_vgpr 46
		.amdhsa_next_free_sgpr 25
		.amdhsa_accum_offset 48
		.amdhsa_reserve_vcc 1
		.amdhsa_reserve_flat_scratch 0
		.amdhsa_float_round_mode_32 0
		.amdhsa_float_round_mode_16_64 0
		.amdhsa_float_denorm_mode_32 3
		.amdhsa_float_denorm_mode_16_64 3
		.amdhsa_dx10_clamp 1
		.amdhsa_ieee_mode 1
		.amdhsa_fp16_overflow 0
		.amdhsa_tg_split 0
		.amdhsa_exception_fp_ieee_invalid_op 0
		.amdhsa_exception_fp_denorm_src 0
		.amdhsa_exception_fp_ieee_div_zero 0
		.amdhsa_exception_fp_ieee_overflow 0
		.amdhsa_exception_fp_ieee_underflow 0
		.amdhsa_exception_fp_ieee_inexact 0
		.amdhsa_exception_int_div_zero 0
	.end_amdhsa_kernel
	.section	.text._ZN2at6native12_GLOBAL__N_143distribution_elementwise_grid_stride_kernelIdLi2EZNS0_9templates4cuda21uniform_and_transformIddPNS_17CUDAGeneratorImplEZZZNS4_14uniform_kernelIS7_EEvRNS_18TensorIteratorBaseEddT_ENKUlvE_clEvENKUlvE_clEvEUldE_EEvSA_T1_T2_EUlP25hiprandStatePhilox4_32_10E_ZNS1_27distribution_nullary_kernelIdd15HIP_vector_typeIdLj2EES7_SJ_SE_EEvSA_SG_RKT3_T4_EUlidE_EEvlNS_15PhiloxCudaStateESF_SG_,"axG",@progbits,_ZN2at6native12_GLOBAL__N_143distribution_elementwise_grid_stride_kernelIdLi2EZNS0_9templates4cuda21uniform_and_transformIddPNS_17CUDAGeneratorImplEZZZNS4_14uniform_kernelIS7_EEvRNS_18TensorIteratorBaseEddT_ENKUlvE_clEvENKUlvE_clEvEUldE_EEvSA_T1_T2_EUlP25hiprandStatePhilox4_32_10E_ZNS1_27distribution_nullary_kernelIdd15HIP_vector_typeIdLj2EES7_SJ_SE_EEvSA_SG_RKT3_T4_EUlidE_EEvlNS_15PhiloxCudaStateESF_SG_,comdat
.Lfunc_end0:
	.size	_ZN2at6native12_GLOBAL__N_143distribution_elementwise_grid_stride_kernelIdLi2EZNS0_9templates4cuda21uniform_and_transformIddPNS_17CUDAGeneratorImplEZZZNS4_14uniform_kernelIS7_EEvRNS_18TensorIteratorBaseEddT_ENKUlvE_clEvENKUlvE_clEvEUldE_EEvSA_T1_T2_EUlP25hiprandStatePhilox4_32_10E_ZNS1_27distribution_nullary_kernelIdd15HIP_vector_typeIdLj2EES7_SJ_SE_EEvSA_SG_RKT3_T4_EUlidE_EEvlNS_15PhiloxCudaStateESF_SG_, .Lfunc_end0-_ZN2at6native12_GLOBAL__N_143distribution_elementwise_grid_stride_kernelIdLi2EZNS0_9templates4cuda21uniform_and_transformIddPNS_17CUDAGeneratorImplEZZZNS4_14uniform_kernelIS7_EEvRNS_18TensorIteratorBaseEddT_ENKUlvE_clEvENKUlvE_clEvEUldE_EEvSA_T1_T2_EUlP25hiprandStatePhilox4_32_10E_ZNS1_27distribution_nullary_kernelIdd15HIP_vector_typeIdLj2EES7_SJ_SE_EEvSA_SG_RKT3_T4_EUlidE_EEvlNS_15PhiloxCudaStateESF_SG_
                                        ; -- End function
	.section	.AMDGPU.csdata,"",@progbits
; Kernel info:
; codeLenInByte = 2348
; NumSgprs: 29
; NumVgprs: 46
; NumAgprs: 0
; TotalNumVgprs: 46
; ScratchSize: 0
; MemoryBound: 0
; FloatMode: 240
; IeeeMode: 1
; LDSByteSize: 0 bytes/workgroup (compile time only)
; SGPRBlocks: 3
; VGPRBlocks: 5
; NumSGPRsForWavesPerEU: 29
; NumVGPRsForWavesPerEU: 46
; AccumOffset: 48
; Occupancy: 8
; WaveLimiterHint : 0
; COMPUTE_PGM_RSRC2:SCRATCH_EN: 0
; COMPUTE_PGM_RSRC2:USER_SGPR: 6
; COMPUTE_PGM_RSRC2:TRAP_HANDLER: 0
; COMPUTE_PGM_RSRC2:TGID_X_EN: 1
; COMPUTE_PGM_RSRC2:TGID_Y_EN: 0
; COMPUTE_PGM_RSRC2:TGID_Z_EN: 0
; COMPUTE_PGM_RSRC2:TIDIG_COMP_CNT: 0
; COMPUTE_PGM_RSRC3_GFX90A:ACCUM_OFFSET: 11
; COMPUTE_PGM_RSRC3_GFX90A:TG_SPLIT: 0
	.section	.text._ZN2at6native12_GLOBAL__N_143distribution_elementwise_grid_stride_kernelIdLi2EZNS0_9templates4cuda21uniform_and_transformIddPNS_17CUDAGeneratorImplEZZZNS4_14uniform_kernelIS7_EEvRNS_18TensorIteratorBaseEddT_ENKUlvE_clEvENKUlvE_clEvEUldE_EEvSA_T1_T2_EUlP25hiprandStatePhilox4_32_10E_ZNS1_27distribution_nullary_kernelIdd15HIP_vector_typeIdLj2EES7_SJ_SE_EEvSA_SG_RKT3_T4_EUlidE0_EEvlNS_15PhiloxCudaStateESF_SG_,"axG",@progbits,_ZN2at6native12_GLOBAL__N_143distribution_elementwise_grid_stride_kernelIdLi2EZNS0_9templates4cuda21uniform_and_transformIddPNS_17CUDAGeneratorImplEZZZNS4_14uniform_kernelIS7_EEvRNS_18TensorIteratorBaseEddT_ENKUlvE_clEvENKUlvE_clEvEUldE_EEvSA_T1_T2_EUlP25hiprandStatePhilox4_32_10E_ZNS1_27distribution_nullary_kernelIdd15HIP_vector_typeIdLj2EES7_SJ_SE_EEvSA_SG_RKT3_T4_EUlidE0_EEvlNS_15PhiloxCudaStateESF_SG_,comdat
	.globl	_ZN2at6native12_GLOBAL__N_143distribution_elementwise_grid_stride_kernelIdLi2EZNS0_9templates4cuda21uniform_and_transformIddPNS_17CUDAGeneratorImplEZZZNS4_14uniform_kernelIS7_EEvRNS_18TensorIteratorBaseEddT_ENKUlvE_clEvENKUlvE_clEvEUldE_EEvSA_T1_T2_EUlP25hiprandStatePhilox4_32_10E_ZNS1_27distribution_nullary_kernelIdd15HIP_vector_typeIdLj2EES7_SJ_SE_EEvSA_SG_RKT3_T4_EUlidE0_EEvlNS_15PhiloxCudaStateESF_SG_ ; -- Begin function _ZN2at6native12_GLOBAL__N_143distribution_elementwise_grid_stride_kernelIdLi2EZNS0_9templates4cuda21uniform_and_transformIddPNS_17CUDAGeneratorImplEZZZNS4_14uniform_kernelIS7_EEvRNS_18TensorIteratorBaseEddT_ENKUlvE_clEvENKUlvE_clEvEUldE_EEvSA_T1_T2_EUlP25hiprandStatePhilox4_32_10E_ZNS1_27distribution_nullary_kernelIdd15HIP_vector_typeIdLj2EES7_SJ_SE_EEvSA_SG_RKT3_T4_EUlidE0_EEvlNS_15PhiloxCudaStateESF_SG_
	.p2align	8
	.type	_ZN2at6native12_GLOBAL__N_143distribution_elementwise_grid_stride_kernelIdLi2EZNS0_9templates4cuda21uniform_and_transformIddPNS_17CUDAGeneratorImplEZZZNS4_14uniform_kernelIS7_EEvRNS_18TensorIteratorBaseEddT_ENKUlvE_clEvENKUlvE_clEvEUldE_EEvSA_T1_T2_EUlP25hiprandStatePhilox4_32_10E_ZNS1_27distribution_nullary_kernelIdd15HIP_vector_typeIdLj2EES7_SJ_SE_EEvSA_SG_RKT3_T4_EUlidE0_EEvlNS_15PhiloxCudaStateESF_SG_,@function
_ZN2at6native12_GLOBAL__N_143distribution_elementwise_grid_stride_kernelIdLi2EZNS0_9templates4cuda21uniform_and_transformIddPNS_17CUDAGeneratorImplEZZZNS4_14uniform_kernelIS7_EEvRNS_18TensorIteratorBaseEddT_ENKUlvE_clEvENKUlvE_clEvEUldE_EEvSA_T1_T2_EUlP25hiprandStatePhilox4_32_10E_ZNS1_27distribution_nullary_kernelIdd15HIP_vector_typeIdLj2EES7_SJ_SE_EEvSA_SG_RKT3_T4_EUlidE0_EEvlNS_15PhiloxCudaStateESF_SG_: ; @_ZN2at6native12_GLOBAL__N_143distribution_elementwise_grid_stride_kernelIdLi2EZNS0_9templates4cuda21uniform_and_transformIddPNS_17CUDAGeneratorImplEZZZNS4_14uniform_kernelIS7_EEvRNS_18TensorIteratorBaseEddT_ENKUlvE_clEvENKUlvE_clEvEUldE_EEvSA_T1_T2_EUlP25hiprandStatePhilox4_32_10E_ZNS1_27distribution_nullary_kernelIdd15HIP_vector_typeIdLj2EES7_SJ_SE_EEvSA_SG_RKT3_T4_EUlidE0_EEvlNS_15PhiloxCudaStateESF_SG_
; %bb.0:
	s_load_dword s2, s[4:5], 0x20
	s_load_dwordx2 s[0:1], s[4:5], 0x10
	s_load_dwordx4 s[36:39], s[4:5], 0x0
	s_waitcnt lgkmcnt(0)
	s_bitcmp0_b32 s2, 0
	s_mov_b32 s2, 0
	v_pk_mov_b32 v[2:3], s[0:1], s[0:1] op_sel:[0,1]
	v_pk_mov_b32 v[12:13], s[38:39], s[38:39] op_sel:[0,1]
	s_cbranch_scc1 .LBB1_2
; %bb.1:
	v_pk_mov_b32 v[2:3], s[0:1], s[0:1] op_sel:[0,1]
	flat_load_dwordx2 v[2:3], v[2:3]
	v_pk_mov_b32 v[4:5], s[38:39], s[38:39] op_sel:[0,1]
	flat_load_dwordx2 v[12:13], v[4:5]
	s_load_dwordx2 s[0:1], s[4:5], 0x18
	s_waitcnt lgkmcnt(0)
	v_mov_b32_e32 v1, s1
	s_waitcnt vmcnt(0)
	v_add_co_u32_e32 v2, vcc, s0, v2
	v_addc_co_u32_e32 v3, vcc, v3, v1, vcc
.LBB1_2:
	s_load_dword s0, s[4:5], 0x164
	s_load_dword s7, s[4:5], 0x158
	s_waitcnt lgkmcnt(0)
	s_and_b32 s8, s0, 0xffff
	s_add_u32 s9, s36, -1
	s_mul_i32 s33, s7, s8
	s_addc_u32 s3, s37, -1
	s_lshl_b32 s64, s33, 1
	s_cmp_lg_u64 s[2:3], 0
	s_mov_b64 s[0:1], -1
	s_cbranch_scc0 .LBB1_51
; %bb.3:
	v_cvt_f32_u32_e32 v1, s64
	v_cvt_f32_ubyte0_e32 v4, 0
	s_sub_u32 s2, 0, s64
	s_subb_u32 s10, 0, 0
	v_madmk_f32 v1, v4, 0x4f800000, v1
	v_rcp_f32_e32 v1, v1
	v_mul_f32_e32 v1, 0x5f7ffffc, v1
	v_mul_f32_e32 v4, 0x2f800000, v1
	v_trunc_f32_e32 v4, v4
	v_madmk_f32 v1, v4, 0xcf800000, v1
	v_cvt_u32_f32_e32 v4, v4
	v_cvt_u32_f32_e32 v1, v1
	v_readfirstlane_b32 s11, v4
	v_readfirstlane_b32 s12, v1
	s_mul_i32 s13, s2, s11
	s_mul_hi_u32 s15, s2, s12
	s_mul_i32 s14, s10, s12
	s_add_i32 s13, s15, s13
	s_add_i32 s13, s13, s14
	s_mul_i32 s16, s2, s12
	s_mul_hi_u32 s14, s12, s13
	s_mul_i32 s15, s12, s13
	s_mul_hi_u32 s12, s12, s16
	s_add_u32 s12, s12, s15
	s_addc_u32 s14, 0, s14
	s_mul_hi_u32 s17, s11, s16
	s_mul_i32 s16, s11, s16
	s_add_u32 s12, s12, s16
	s_mul_hi_u32 s15, s11, s13
	s_addc_u32 s12, s14, s17
	s_addc_u32 s14, s15, 0
	s_mul_i32 s13, s11, s13
	s_add_u32 s12, s12, s13
	s_addc_u32 s13, 0, s14
	v_add_co_u32_e32 v1, vcc, s12, v1
	s_cmp_lg_u64 vcc, 0
	s_addc_u32 s11, s11, s13
	v_readfirstlane_b32 s13, v1
	s_mul_i32 s12, s2, s11
	s_mul_hi_u32 s14, s2, s13
	s_add_i32 s12, s14, s12
	s_mul_i32 s10, s10, s13
	s_add_i32 s12, s12, s10
	s_mul_i32 s2, s2, s13
	s_mul_hi_u32 s14, s11, s2
	s_mul_i32 s15, s11, s2
	s_mul_i32 s17, s13, s12
	s_mul_hi_u32 s2, s13, s2
	s_mul_hi_u32 s16, s13, s12
	s_add_u32 s2, s2, s17
	s_addc_u32 s13, 0, s16
	s_add_u32 s2, s2, s15
	s_mul_hi_u32 s10, s11, s12
	s_addc_u32 s2, s13, s14
	s_addc_u32 s10, s10, 0
	s_mul_i32 s12, s11, s12
	s_add_u32 s2, s2, s12
	s_addc_u32 s10, 0, s10
	v_add_co_u32_e32 v1, vcc, s2, v1
	s_cmp_lg_u64 vcc, 0
	s_addc_u32 s12, s11, s10
	s_ashr_i32 s10, s3, 31
	s_add_u32 s2, s9, s10
	s_mov_b32 s11, s10
	s_addc_u32 s3, s3, s10
	s_xor_b64 s[2:3], s[2:3], s[10:11]
	v_readfirstlane_b32 s15, v1
	s_mul_i32 s14, s2, s12
	s_mul_hi_u32 s16, s2, s15
	s_mul_hi_u32 s13, s2, s12
	s_add_u32 s14, s16, s14
	s_addc_u32 s13, 0, s13
	s_mul_hi_u32 s17, s3, s15
	s_mul_i32 s15, s3, s15
	s_add_u32 s14, s14, s15
	s_mul_hi_u32 s16, s3, s12
	s_addc_u32 s13, s13, s17
	s_addc_u32 s14, s16, 0
	s_mul_i32 s12, s3, s12
	s_add_u32 s12, s13, s12
	s_addc_u32 s13, 0, s14
	s_add_u32 s14, s12, 1
	s_addc_u32 s15, s13, 0
	s_add_u32 s16, s12, 2
	s_mul_i32 s18, s64, s13
	s_mul_hi_u32 s19, s64, s12
	s_addc_u32 s17, s13, 0
	s_add_i32 s19, s19, s18
	s_mul_i32 s18, s64, s12
	v_mov_b32_e32 v1, s18
	v_sub_co_u32_e32 v1, vcc, s2, v1
	s_cmp_lg_u64 vcc, 0
	s_subb_u32 s2, s3, s19
	v_subrev_co_u32_e32 v4, vcc, s64, v1
	s_cmp_lg_u64 vcc, 0
	s_subb_u32 s3, s2, 0
	v_readfirstlane_b32 s18, v4
	s_cmp_ge_u32 s18, s64
	s_cselect_b32 s18, -1, 0
	s_cmp_eq_u32 s3, 0
	s_cselect_b32 s3, s18, -1
	s_cmp_lg_u32 s3, 0
	s_cselect_b32 s3, s17, s15
	v_readfirstlane_b32 s15, v1
	s_cselect_b32 s14, s16, s14
	s_cmp_ge_u32 s15, s64
	s_cselect_b32 s15, -1, 0
	s_cmp_eq_u32 s2, 0
	s_cselect_b32 s2, s15, -1
	s_cmp_lg_u32 s2, 0
	s_cselect_b32 s3, s3, s13
	s_cselect_b32 s2, s14, s12
	s_xor_b64 s[2:3], s[2:3], s[10:11]
	s_sub_u32 s2, s2, s10
	s_subb_u32 s3, s3, s10
	s_cbranch_execnz .LBB1_5
.LBB1_4:
	v_cvt_f32_u32_e32 v1, s64
	s_sub_i32 s0, 0, s64
	s_mov_b32 s3, 0
	v_rcp_iflag_f32_e32 v1, v1
	v_mul_f32_e32 v1, 0x4f7ffffe, v1
	v_cvt_u32_f32_e32 v1, v1
	v_readfirstlane_b32 s1, v1
	s_mul_i32 s0, s0, s1
	s_mul_hi_u32 s0, s1, s0
	s_add_i32 s1, s1, s0
	s_mul_hi_u32 s0, s9, s1
	s_mul_i32 s2, s0, s64
	s_sub_i32 s2, s9, s2
	s_add_i32 s1, s0, 1
	s_sub_i32 s9, s2, s64
	s_cmp_ge_u32 s2, s64
	s_cselect_b32 s0, s1, s0
	s_cselect_b32 s2, s9, s2
	s_add_i32 s1, s0, 1
	s_cmp_ge_u32 s2, s64
	s_cselect_b32 s2, s1, s0
.LBB1_5:
	v_mov_b32_e32 v1, 0
	v_mov_b32_e32 v4, s6
	v_mad_u64_u32 v[14:15], s[0:1], s8, v4, v[0:1]
	s_add_u32 s0, s2, 1
	s_addc_u32 s1, s3, 0
	s_mul_hi_u32 s2, s7, s8
	s_mul_i32 s1, s33, s1
	s_mul_hi_u32 s3, s33, s0
	s_add_i32 s1, s3, s1
	s_mul_i32 s2, s2, s0
	s_add_i32 s1, s1, s2
	s_mul_i32 s0, s33, s0
	s_lshl_b64 s[34:35], s[0:1], 1
	v_cmp_gt_i64_e32 vcc, s[34:35], v[14:15]
	s_and_saveexec_b64 s[0:1], vcc
	s_cbranch_execz .LBB1_50
; %bb.6:
	s_mov_b32 s0, 0x5384540f
	v_mov_b32_e32 v0, v13
	v_add_co_u32_e32 v22, vcc, s0, v12
	s_mov_b32 s0, 0x646e171e
	v_add_co_u32_e32 v23, vcc, s0, v0
	s_mov_b32 s0, 0x1715609d
	;; [unrolled: 2-line block ×6, first 2 shown]
	v_alignbit_b32 v29, v3, v2, 2
	s_mov_b32 s66, 0xd2511f53
	v_add_co_u32_e32 v28, vcc, s0, v12
	v_mad_u64_u32 v[4:5], s[0:1], v29, s66, 0
	v_xor_b32_e32 v1, v5, v13
	v_xor_b32_e32 v1, v1, v15
	s_mov_b32 s67, 0xcd9e8d57
	v_mad_u64_u32 v[6:7], s[0:1], v1, s67, 0
	v_xor_b32_e32 v1, v28, v7
	v_mad_u64_u32 v[8:9], s[0:1], v14, s67, 0
	v_and_b32_e32 v18, 3, v2
	v_xor_b32_e32 v1, v1, v8
	v_xor_b32_e32 v2, v12, v9
	v_lshrrev_b32_e32 v30, 2, v3
	v_mad_u64_u32 v[10:11], s[0:1], v1, s66, 0
	v_xor_b32_e32 v2, v2, v30
	v_xor_b32_e32 v1, v27, v11
	v_mad_u64_u32 v[2:3], s[0:1], v2, s66, 0
	v_xor_b32_e32 v1, v1, v2
	v_mad_u64_u32 v[8:9], s[0:1], v1, s67, 0
	s_mov_b32 s0, 0xbb67ae85
	v_add_co_u32_e32 v31, vcc, s0, v0
	v_xor_b32_e32 v2, v31, v3
	v_xor_b32_e32 v2, v2, v4
	v_xor_b32_e32 v1, v26, v9
	v_mad_u64_u32 v[2:3], s[0:1], v2, s67, 0
	v_xor_b32_e32 v1, v1, v2
	v_mad_u64_u32 v[4:5], s[0:1], v1, s66, 0
	s_mov_b32 s0, 0x3c6ef372
	v_add_co_u32_e32 v32, vcc, s0, v12
	v_xor_b32_e32 v2, v32, v3
	;; [unrolled: 8-line block ×6, first 2 shown]
	v_add_co_u32_e32 v21, vcc, 0xdb3d7428, v0
	v_xor_b32_e32 v2, v2, v6
	v_xor_b32_e32 v1, v21, v5
	v_mad_u64_u32 v[2:3], s[0:1], v2, s66, 0
	v_xor_b32_e32 v1, v1, v2
	v_mad_u64_u32 v[6:7], s[0:1], v1, s67, 0
	s_mov_b32 s0, 0x1fd5c5a3
	v_add_co_u32_e32 v37, vcc, s0, v0
	v_xor_b32_e32 v0, v37, v3
	v_xor_b32_e32 v0, v0, v10
	v_mad_u64_u32 v[0:1], s[0:1], v0, s67, 0
	s_mov_b32 s0, 0xf1bbcdc8
	s_load_dwordx8 s[8:15], s[4:5], 0x30
	v_add_co_u32_e32 v38, vcc, s0, v12
	v_xor_b32_e32 v1, v38, v1
	v_xor_b32_e32 v1, v1, v8
	s_add_u32 s38, s4, 48
	v_mad_u64_u32 v[8:9], s[0:1], v1, s66, 0
	s_addc_u32 s39, s5, 0
	s_waitcnt lgkmcnt(0)
	s_add_i32 s0, s8, -1
	s_cmp_gt_u32 s0, 1
	s_cselect_b64 s[44:45], -1, 0
	s_cmp_lg_u32 s8, 0
	s_cselect_b64 s[46:47], -1, 0
	s_add_u32 s48, s4, 0xf4
	s_addc_u32 s49, s5, 0
	s_min_u32 s1, s0, 15
	s_cmp_gt_u32 s8, 1
	s_cselect_b64 s[52:53], -1, 0
	s_add_i32 s1, s1, 1
	s_load_dwordx2 s[50:51], s[4:5], 0xf4
	s_mov_b32 s8, s13
	s_load_dwordx8 s[16:23], s[4:5], 0x138
	s_and_b32 s13, s1, 3
	s_cmp_lg_u32 s0, 2
	s_cselect_b64 s[54:55], -1, 0
	s_and_b32 s15, s1, 28
	v_add_u32_e32 v19, 0x8ff34781, v12
	v_add_u32_e32 v20, 0x96a522ad, v13
	v_xor_b32_e32 v0, v7, v0
	v_xor_b32_e32 v1, v9, v4
	s_cmp_lg_u32 s13, 0
	s_mov_b32 s65, 0
	v_xor_b32_e32 v0, v19, v0
	v_xor_b32_e32 v2, v20, v1
	v_mov_b32_e32 v1, v6
	v_mov_b32_e32 v3, v8
	s_mov_b64 s[56:57], 0
	s_cselect_b64 s[58:59], -1, 0
	v_mov_b32_e32 v39, v14
	v_mov_b32_e32 v40, v15
	s_branch .LBB1_9
.LBB1_7:                                ;   in Loop: Header=BB1_9 Depth=1
	v_lshrrev_b32_e32 v0, 11, v3
	v_cvt_f64_u32_e32 v[0:1], v0
	v_ldexp_f64 v[0:1], v[0:1], 32
	v_cvt_f64_u32_e32 v[2:3], v2
	v_add_f64 v[0:1], v[0:1], v[2:3]
	v_mov_b32_e32 v2, 0
	v_mov_b32_e32 v3, 0x3ca00000
	v_fmac_f64_e32 v[2:3], 0x3ca00000, v[0:1]
	s_waitcnt lgkmcnt(0)
	v_pk_mov_b32 v[0:1], s[20:21], s[20:21] op_sel:[0,1]
	v_fma_f64 v[0:1], s[18:19], v[2:3], v[0:1]
	v_mov_b32_e32 v2, s21
	v_cmp_eq_f64_e32 vcc, s[22:23], v[0:1]
	v_cndmask_b32_e32 v1, v1, v2, vcc
	v_mov_b32_e32 v2, s20
	v_cndmask_b32_e32 v0, v0, v2, vcc
	global_store_dwordx2 v8, v[0:1], s[16:17]
.LBB1_8:                                ;   in Loop: Header=BB1_9 Depth=1
	s_or_b64 exec, exec, s[40:41]
	v_add_co_u32_e32 v14, vcc, s64, v14
	v_addc_co_u32_e32 v15, vcc, 0, v15, vcc
	v_mov_b32_e32 v7, v16
	v_cmp_le_i64_e32 vcc, s[34:35], v[14:15]
	v_pk_mov_b32 v[0:1], v[4:5], v[4:5] op_sel:[0,1]
	s_or_b64 s[56:57], vcc, s[56:57]
	v_pk_mov_b32 v[2:3], v[6:7], v[6:7] op_sel:[0,1]
	s_waitcnt lgkmcnt(0)
	s_barrier
	s_andn2_b64 exec, exec, s[56:57]
	s_cbranch_execz .LBB1_50
.LBB1_9:                                ; =>This Loop Header: Depth=1
                                        ;     Child Loop BB1_24 Depth 2
                                        ;     Child Loop BB1_30 Depth 2
	;; [unrolled: 1-line block ×4, first 2 shown]
	v_add_co_u32_e32 v29, vcc, 1, v29
	v_cndmask_b32_e64 v4, 0, 1, vcc
	v_addc_co_u32_e32 v30, vcc, 0, v30, vcc
	v_cmp_eq_u32_e32 vcc, 0, v30
	v_cndmask_b32_e32 v4, 0, v4, vcc
	v_add_u32_e32 v39, v4, v39
	v_cmp_eq_u32_e32 vcc, 0, v39
	v_cndmask_b32_e32 v4, 0, v4, vcc
	v_add_u32_e32 v40, v4, v40
	v_mad_u64_u32 v[4:5], s[0:1], v29, s66, 0
	v_mad_u64_u32 v[6:7], s[0:1], v39, s67, 0
	v_xor_b32_e32 v5, v5, v13
	v_xor_b32_e32 v7, v7, v12
	v_xor_b32_e32 v5, v40, v5
	v_xor_b32_e32 v7, v30, v7
	v_mad_u64_u32 v[10:11], s[0:1], v5, s67, 0
	v_mad_u64_u32 v[8:9], s[0:1], v7, s66, 0
	v_xor_b32_e32 v5, v28, v11
	v_xor_b32_e32 v5, v5, v6
	v_xor_b32_e32 v6, v31, v9
	v_xor_b32_e32 v6, v6, v4
	;; [unrolled: 6-line block ×10, first 2 shown]
	v_mov_b32_e32 v5, v10
	v_mov_b32_e32 v6, v11
	v_cmp_lt_i32_e32 vcc, 1, v18
	s_and_saveexec_b64 s[0:1], vcc
	s_xor_b64 s[0:1], exec, s[0:1]
	s_cbranch_execz .LBB1_15
; %bb.10:                               ;   in Loop: Header=BB1_9 Depth=1
	v_cmp_lt_i32_e32 vcc, 2, v18
	s_and_saveexec_b64 s[2:3], vcc
	s_xor_b64 s[2:3], exec, s[2:3]
; %bb.11:                               ;   in Loop: Header=BB1_9 Depth=1
	v_mov_b32_e32 v8, v3
	v_mov_b32_e32 v9, v4
	v_pk_mov_b32 v[0:1], v[8:9], v[8:9] op_sel:[0,1]
	v_pk_mov_b32 v[2:3], v[10:11], v[10:11] op_sel:[0,1]
                                        ; implicit-def: $vgpr10_vgpr11
; %bb.12:                               ;   in Loop: Header=BB1_9 Depth=1
	s_andn2_saveexec_b64 s[2:3], s[2:3]
; %bb.13:                               ;   in Loop: Header=BB1_9 Depth=1
	v_mov_b32_e32 v0, v2
	v_mov_b32_e32 v1, v3
	;; [unrolled: 1-line block ×4, first 2 shown]
; %bb.14:                               ;   in Loop: Header=BB1_9 Depth=1
	s_or_b64 exec, exec, s[2:3]
.LBB1_15:                               ;   in Loop: Header=BB1_9 Depth=1
	s_andn2_saveexec_b64 s[0:1], s[0:1]
	s_cbranch_execz .LBB1_19
; %bb.16:                               ;   in Loop: Header=BB1_9 Depth=1
	v_cmp_eq_u32_e32 vcc, 1, v18
	s_and_saveexec_b64 s[2:3], vcc
; %bb.17:                               ;   in Loop: Header=BB1_9 Depth=1
	v_mov_b32_e32 v0, v1
	v_mov_b32_e32 v1, v2
	;; [unrolled: 1-line block ×4, first 2 shown]
; %bb.18:                               ;   in Loop: Header=BB1_9 Depth=1
	s_or_b64 exec, exec, s[2:3]
.LBB1_19:                               ;   in Loop: Header=BB1_9 Depth=1
	s_or_b64 exec, exec, s[0:1]
	v_cndmask_b32_e64 v7, 0, 1, s[44:45]
	v_cmp_gt_i64_e32 vcc, s[36:37], v[14:15]
	v_cmp_ne_u32_e64 s[0:1], 1, v7
	s_and_saveexec_b64 s[2:3], vcc
	s_cbranch_execz .LBB1_35
; %bb.20:                               ;   in Loop: Header=BB1_9 Depth=1
	s_and_b64 vcc, exec, s[0:1]
	s_cbranch_vccnz .LBB1_26
; %bb.21:                               ;   in Loop: Header=BB1_9 Depth=1
	s_andn2_b64 vcc, exec, s[46:47]
	s_cbranch_vccnz .LBB1_27
; %bb.22:                               ;   in Loop: Header=BB1_9 Depth=1
	s_mov_b32 s6, 0
	s_andn2_b64 vcc, exec, s[54:55]
	v_mov_b32_e32 v8, 0
	s_cbranch_vccnz .LBB1_28
; %bb.23:                               ;   in Loop: Header=BB1_9 Depth=1
	s_mov_b32 s68, 0
	v_mov_b32_e32 v8, 0
	s_mov_b64 s[60:61], s[38:39]
	s_mov_b64 s[62:63], s[48:49]
	v_mov_b32_e32 v7, v14
.LBB1_24:                               ;   Parent Loop BB1_9 Depth=1
                                        ; =>  This Inner Loop Header: Depth=2
	s_load_dwordx8 s[24:31], s[60:61], 0x4
	s_load_dwordx4 s[4:7], s[60:61], 0x24
	s_load_dwordx4 s[40:43], s[62:63], 0x0
	s_add_u32 s60, s60, 48
	s_addc_u32 s61, s61, 0
	s_waitcnt lgkmcnt(0)
	v_mul_hi_u32 v9, s25, v7
	v_add_u32_e32 v9, v7, v9
	v_lshrrev_b32_e32 v9, s26, v9
	v_mul_lo_u32 v10, v9, s24
	v_mul_hi_u32 v11, s28, v9
	v_sub_u32_e32 v7, v7, v10
	v_add_u32_e32 v10, v9, v11
	v_lshrrev_b32_e32 v10, s29, v10
	v_mul_lo_u32 v11, v10, s27
	v_mul_hi_u32 v17, s31, v10
	v_sub_u32_e32 v9, v9, v11
	v_add_u32_e32 v11, v10, v17
	v_mul_lo_u32 v7, v7, s40
	v_mul_lo_u32 v9, v9, s41
	v_lshrrev_b32_e32 v11, s4, v11
	v_add3_u32 v8, v7, v8, v9
	v_mul_lo_u32 v7, v11, s30
	v_mul_hi_u32 v9, s6, v11
	v_sub_u32_e32 v7, v10, v7
	v_add_u32_e32 v9, v11, v9
	v_mul_lo_u32 v10, v7, s42
	v_lshrrev_b32_e32 v7, s7, v9
	s_add_i32 s68, s68, 4
	v_mul_lo_u32 v9, v7, s5
	s_add_u32 s62, s62, 16
	v_sub_u32_e32 v9, v11, v9
	s_addc_u32 s63, s63, 0
	v_mul_lo_u32 v9, v9, s43
	s_cmp_lg_u32 s15, s68
	v_add3_u32 v8, v10, v8, v9
	s_cbranch_scc1 .LBB1_24
; %bb.25:                               ;   in Loop: Header=BB1_9 Depth=1
	s_mov_b32 s6, s15
	s_andn2_b64 vcc, exec, s[58:59]
	s_cbranch_vccz .LBB1_29
	s_branch .LBB1_31
.LBB1_26:                               ;   in Loop: Header=BB1_9 Depth=1
                                        ; implicit-def: $vgpr8
	s_branch .LBB1_32
.LBB1_27:                               ;   in Loop: Header=BB1_9 Depth=1
	v_mov_b32_e32 v8, 0
	s_branch .LBB1_31
.LBB1_28:                               ;   in Loop: Header=BB1_9 Depth=1
	v_mov_b32_e32 v7, v14
	s_andn2_b64 vcc, exec, s[58:59]
	s_cbranch_vccnz .LBB1_31
.LBB1_29:                               ;   in Loop: Header=BB1_9 Depth=1
	s_lshl_b32 s4, s6, 2
	s_add_u32 s4, s48, s4
	s_addc_u32 s5, s49, 0
	s_mul_i32 s6, s6, 12
	s_add_u32 s6, s38, s6
	s_addc_u32 s7, s39, 0
	s_mov_b32 s24, s13
.LBB1_30:                               ;   Parent Loop BB1_9 Depth=1
                                        ; =>  This Inner Loop Header: Depth=2
	s_load_dwordx2 s[26:27], s[6:7], 0x4
	s_load_dword s25, s[6:7], 0xc
	s_load_dword s28, s[4:5], 0x0
	s_add_u32 s6, s6, 12
	s_addc_u32 s7, s7, 0
	s_waitcnt lgkmcnt(0)
	v_mul_hi_u32 v9, s27, v7
	v_add_u32_e32 v9, v7, v9
	v_lshrrev_b32_e32 v9, s25, v9
	s_add_u32 s4, s4, 4
	v_mul_lo_u32 v10, v9, s26
	s_addc_u32 s5, s5, 0
	s_add_i32 s24, s24, -1
	v_sub_u32_e32 v10, v7, v10
	s_cmp_lg_u32 s24, 0
	v_mov_b32_e32 v7, v9
	v_mad_u64_u32 v[8:9], s[26:27], v10, s28, v[8:9]
	s_cbranch_scc1 .LBB1_30
.LBB1_31:                               ;   in Loop: Header=BB1_9 Depth=1
	s_cbranch_execnz .LBB1_34
.LBB1_32:                               ;   in Loop: Header=BB1_9 Depth=1
	v_mul_hi_u32 v7, v14, s10
	v_add_u32_e32 v7, v7, v14
	v_lshrrev_b32_e32 v7, s11, v7
	v_mul_lo_u32 v8, v7, s9
	v_sub_u32_e32 v8, v14, v8
	s_andn2_b64 vcc, exec, s[52:53]
	s_waitcnt lgkmcnt(0)
	v_mul_lo_u32 v8, v8, s50
	s_cbranch_vccnz .LBB1_34
; %bb.33:                               ;   in Loop: Header=BB1_9 Depth=1
	v_mul_hi_u32 v9, s8, v7
	v_add_u32_e32 v9, v7, v9
	v_lshrrev_b32_e32 v9, s14, v9
	v_mul_lo_u32 v9, v9, s12
	v_sub_u32_e32 v7, v7, v9
	v_mad_u64_u32 v[8:9], s[4:5], v7, s51, v[8:9]
.LBB1_34:                               ;   in Loop: Header=BB1_9 Depth=1
	v_lshrrev_b32_e32 v1, 11, v1
	v_cvt_f64_u32_e32 v[10:11], v1
	v_ldexp_f64 v[10:11], v[10:11], 32
	v_cvt_f64_u32_e32 v[0:1], v0
	v_add_f64 v[0:1], v[10:11], v[0:1]
	v_mov_b32_e32 v10, 0
	v_mov_b32_e32 v11, 0x3ca00000
	v_fmac_f64_e32 v[10:11], 0x3ca00000, v[0:1]
	s_waitcnt lgkmcnt(0)
	v_pk_mov_b32 v[0:1], s[20:21], s[20:21] op_sel:[0,1]
	v_fma_f64 v[0:1], s[18:19], v[10:11], v[0:1]
	v_mov_b32_e32 v7, s21
	v_cmp_eq_f64_e32 vcc, s[22:23], v[0:1]
	v_cndmask_b32_e32 v1, v1, v7, vcc
	v_mov_b32_e32 v7, s20
	v_cndmask_b32_e32 v0, v0, v7, vcc
	global_store_dwordx2 v8, v[0:1], s[16:17]
.LBB1_35:                               ;   in Loop: Header=BB1_9 Depth=1
	s_or_b64 exec, exec, s[2:3]
	v_mov_b32_e32 v1, s65
	v_add_co_u32_e32 v0, vcc, s33, v14
	v_addc_co_u32_e32 v1, vcc, v15, v1, vcc
	v_cmp_gt_i64_e32 vcc, s[36:37], v[0:1]
	s_and_saveexec_b64 s[40:41], vcc
	s_cbranch_execz .LBB1_8
; %bb.36:                               ;   in Loop: Header=BB1_9 Depth=1
	s_and_b64 vcc, exec, s[0:1]
	s_cbranch_vccnz .LBB1_42
; %bb.37:                               ;   in Loop: Header=BB1_9 Depth=1
	s_andn2_b64 vcc, exec, s[46:47]
	s_cbranch_vccnz .LBB1_43
; %bb.38:                               ;   in Loop: Header=BB1_9 Depth=1
	s_mov_b32 s2, 0
	s_andn2_b64 vcc, exec, s[54:55]
	v_mov_b32_e32 v8, 0
	s_cbranch_vccnz .LBB1_44
; %bb.39:                               ;   in Loop: Header=BB1_9 Depth=1
	s_mov_b32 s62, 0
	v_mov_b32_e32 v8, 0
	s_mov_b64 s[42:43], s[38:39]
	s_mov_b64 s[60:61], s[48:49]
	v_mov_b32_e32 v1, v0
.LBB1_40:                               ;   Parent Loop BB1_9 Depth=1
                                        ; =>  This Inner Loop Header: Depth=2
	s_load_dwordx8 s[0:7], s[42:43], 0x4
	s_load_dwordx4 s[24:27], s[42:43], 0x24
	s_load_dwordx4 s[28:31], s[60:61], 0x0
	s_add_u32 s42, s42, 48
	s_addc_u32 s43, s43, 0
	s_waitcnt lgkmcnt(0)
	v_mul_hi_u32 v7, s1, v1
	v_add_u32_e32 v7, v1, v7
	v_lshrrev_b32_e32 v7, s2, v7
	v_mul_lo_u32 v9, v7, s0
	v_mul_hi_u32 v10, s4, v7
	v_sub_u32_e32 v1, v1, v9
	v_add_u32_e32 v9, v7, v10
	v_lshrrev_b32_e32 v9, s5, v9
	v_mul_lo_u32 v10, v9, s3
	v_mul_hi_u32 v11, s7, v9
	v_sub_u32_e32 v7, v7, v10
	v_add_u32_e32 v10, v9, v11
	v_mul_lo_u32 v1, v1, s28
	v_mul_lo_u32 v7, v7, s29
	v_lshrrev_b32_e32 v10, s24, v10
	v_add3_u32 v7, v1, v8, v7
	v_mul_lo_u32 v1, v10, s6
	v_mul_hi_u32 v8, s26, v10
	v_sub_u32_e32 v1, v9, v1
	v_add_u32_e32 v8, v10, v8
	v_mul_lo_u32 v9, v1, s30
	v_lshrrev_b32_e32 v1, s27, v8
	s_add_i32 s62, s62, 4
	v_mul_lo_u32 v8, v1, s25
	s_add_u32 s60, s60, 16
	v_sub_u32_e32 v8, v10, v8
	s_addc_u32 s61, s61, 0
	v_mul_lo_u32 v8, v8, s31
	s_cmp_eq_u32 s15, s62
	v_add3_u32 v8, v9, v7, v8
	s_cbranch_scc0 .LBB1_40
; %bb.41:                               ;   in Loop: Header=BB1_9 Depth=1
	s_mov_b32 s2, s15
	s_andn2_b64 vcc, exec, s[58:59]
	s_cbranch_vccz .LBB1_45
	s_branch .LBB1_47
.LBB1_42:                               ;   in Loop: Header=BB1_9 Depth=1
                                        ; implicit-def: $vgpr8
	s_branch .LBB1_48
.LBB1_43:                               ;   in Loop: Header=BB1_9 Depth=1
	v_mov_b32_e32 v8, 0
	s_branch .LBB1_47
.LBB1_44:                               ;   in Loop: Header=BB1_9 Depth=1
	v_mov_b32_e32 v1, v0
	s_andn2_b64 vcc, exec, s[58:59]
	s_cbranch_vccnz .LBB1_47
.LBB1_45:                               ;   in Loop: Header=BB1_9 Depth=1
	s_lshl_b32 s0, s2, 2
	s_add_u32 s0, s48, s0
	s_addc_u32 s1, s49, 0
	s_mul_i32 s2, s2, 12
	s_add_u32 s2, s38, s2
	s_addc_u32 s3, s39, 0
	s_mov_b32 s4, s13
.LBB1_46:                               ;   Parent Loop BB1_9 Depth=1
                                        ; =>  This Inner Loop Header: Depth=2
	s_load_dwordx2 s[6:7], s[2:3], 0x4
	s_load_dword s5, s[2:3], 0xc
	s_load_dword s24, s[0:1], 0x0
	s_add_u32 s2, s2, 12
	s_addc_u32 s3, s3, 0
	s_waitcnt lgkmcnt(0)
	v_mul_hi_u32 v7, s7, v1
	v_add_u32_e32 v7, v1, v7
	v_lshrrev_b32_e32 v7, s5, v7
	s_add_u32 s0, s0, 4
	v_mul_lo_u32 v9, v7, s6
	s_addc_u32 s1, s1, 0
	s_add_i32 s4, s4, -1
	v_sub_u32_e32 v9, v1, v9
	s_cmp_lg_u32 s4, 0
	v_mov_b32_e32 v1, v7
	v_mad_u64_u32 v[8:9], s[6:7], v9, s24, v[8:9]
	s_cbranch_scc1 .LBB1_46
.LBB1_47:                               ;   in Loop: Header=BB1_9 Depth=1
	s_cbranch_execnz .LBB1_7
.LBB1_48:                               ;   in Loop: Header=BB1_9 Depth=1
	v_mul_hi_u32 v1, v0, s10
	v_add_u32_e32 v1, v1, v0
	v_lshrrev_b32_e32 v1, s11, v1
	v_mul_lo_u32 v7, v1, s9
	v_sub_u32_e32 v0, v0, v7
	s_andn2_b64 vcc, exec, s[52:53]
	s_waitcnt lgkmcnt(0)
	v_mul_lo_u32 v8, v0, s50
	s_cbranch_vccnz .LBB1_7
; %bb.49:                               ;   in Loop: Header=BB1_9 Depth=1
	v_mul_hi_u32 v0, s8, v1
	v_add_u32_e32 v0, v1, v0
	v_lshrrev_b32_e32 v0, s14, v0
	v_mul_lo_u32 v0, v0, s12
	v_sub_u32_e32 v0, v1, v0
	v_mad_u64_u32 v[8:9], s[0:1], v0, s51, v[8:9]
	s_branch .LBB1_7
.LBB1_50:
	s_endpgm
.LBB1_51:
                                        ; implicit-def: $sgpr2_sgpr3
	s_andn2_b64 vcc, exec, s[0:1]
	s_cbranch_vccz .LBB1_4
	s_branch .LBB1_5
	.section	.rodata,"a",@progbits
	.p2align	6, 0x0
	.amdhsa_kernel _ZN2at6native12_GLOBAL__N_143distribution_elementwise_grid_stride_kernelIdLi2EZNS0_9templates4cuda21uniform_and_transformIddPNS_17CUDAGeneratorImplEZZZNS4_14uniform_kernelIS7_EEvRNS_18TensorIteratorBaseEddT_ENKUlvE_clEvENKUlvE_clEvEUldE_EEvSA_T1_T2_EUlP25hiprandStatePhilox4_32_10E_ZNS1_27distribution_nullary_kernelIdd15HIP_vector_typeIdLj2EES7_SJ_SE_EEvSA_SG_RKT3_T4_EUlidE0_EEvlNS_15PhiloxCudaStateESF_SG_
		.amdhsa_group_segment_fixed_size 0
		.amdhsa_private_segment_fixed_size 0
		.amdhsa_kernarg_size 600
		.amdhsa_user_sgpr_count 6
		.amdhsa_user_sgpr_private_segment_buffer 1
		.amdhsa_user_sgpr_dispatch_ptr 0
		.amdhsa_user_sgpr_queue_ptr 0
		.amdhsa_user_sgpr_kernarg_segment_ptr 1
		.amdhsa_user_sgpr_dispatch_id 0
		.amdhsa_user_sgpr_flat_scratch_init 0
		.amdhsa_user_sgpr_kernarg_preload_length 0
		.amdhsa_user_sgpr_kernarg_preload_offset 0
		.amdhsa_user_sgpr_private_segment_size 0
		.amdhsa_uses_dynamic_stack 0
		.amdhsa_system_sgpr_private_segment_wavefront_offset 0
		.amdhsa_system_sgpr_workgroup_id_x 1
		.amdhsa_system_sgpr_workgroup_id_y 0
		.amdhsa_system_sgpr_workgroup_id_z 0
		.amdhsa_system_sgpr_workgroup_info 0
		.amdhsa_system_vgpr_workitem_id 0
		.amdhsa_next_free_vgpr 41
		.amdhsa_next_free_sgpr 69
		.amdhsa_accum_offset 44
		.amdhsa_reserve_vcc 1
		.amdhsa_reserve_flat_scratch 0
		.amdhsa_float_round_mode_32 0
		.amdhsa_float_round_mode_16_64 0
		.amdhsa_float_denorm_mode_32 3
		.amdhsa_float_denorm_mode_16_64 3
		.amdhsa_dx10_clamp 1
		.amdhsa_ieee_mode 1
		.amdhsa_fp16_overflow 0
		.amdhsa_tg_split 0
		.amdhsa_exception_fp_ieee_invalid_op 0
		.amdhsa_exception_fp_denorm_src 0
		.amdhsa_exception_fp_ieee_div_zero 0
		.amdhsa_exception_fp_ieee_overflow 0
		.amdhsa_exception_fp_ieee_underflow 0
		.amdhsa_exception_fp_ieee_inexact 0
		.amdhsa_exception_int_div_zero 0
	.end_amdhsa_kernel
	.section	.text._ZN2at6native12_GLOBAL__N_143distribution_elementwise_grid_stride_kernelIdLi2EZNS0_9templates4cuda21uniform_and_transformIddPNS_17CUDAGeneratorImplEZZZNS4_14uniform_kernelIS7_EEvRNS_18TensorIteratorBaseEddT_ENKUlvE_clEvENKUlvE_clEvEUldE_EEvSA_T1_T2_EUlP25hiprandStatePhilox4_32_10E_ZNS1_27distribution_nullary_kernelIdd15HIP_vector_typeIdLj2EES7_SJ_SE_EEvSA_SG_RKT3_T4_EUlidE0_EEvlNS_15PhiloxCudaStateESF_SG_,"axG",@progbits,_ZN2at6native12_GLOBAL__N_143distribution_elementwise_grid_stride_kernelIdLi2EZNS0_9templates4cuda21uniform_and_transformIddPNS_17CUDAGeneratorImplEZZZNS4_14uniform_kernelIS7_EEvRNS_18TensorIteratorBaseEddT_ENKUlvE_clEvENKUlvE_clEvEUldE_EEvSA_T1_T2_EUlP25hiprandStatePhilox4_32_10E_ZNS1_27distribution_nullary_kernelIdd15HIP_vector_typeIdLj2EES7_SJ_SE_EEvSA_SG_RKT3_T4_EUlidE0_EEvlNS_15PhiloxCudaStateESF_SG_,comdat
.Lfunc_end1:
	.size	_ZN2at6native12_GLOBAL__N_143distribution_elementwise_grid_stride_kernelIdLi2EZNS0_9templates4cuda21uniform_and_transformIddPNS_17CUDAGeneratorImplEZZZNS4_14uniform_kernelIS7_EEvRNS_18TensorIteratorBaseEddT_ENKUlvE_clEvENKUlvE_clEvEUldE_EEvSA_T1_T2_EUlP25hiprandStatePhilox4_32_10E_ZNS1_27distribution_nullary_kernelIdd15HIP_vector_typeIdLj2EES7_SJ_SE_EEvSA_SG_RKT3_T4_EUlidE0_EEvlNS_15PhiloxCudaStateESF_SG_, .Lfunc_end1-_ZN2at6native12_GLOBAL__N_143distribution_elementwise_grid_stride_kernelIdLi2EZNS0_9templates4cuda21uniform_and_transformIddPNS_17CUDAGeneratorImplEZZZNS4_14uniform_kernelIS7_EEvRNS_18TensorIteratorBaseEddT_ENKUlvE_clEvENKUlvE_clEvEUldE_EEvSA_T1_T2_EUlP25hiprandStatePhilox4_32_10E_ZNS1_27distribution_nullary_kernelIdd15HIP_vector_typeIdLj2EES7_SJ_SE_EEvSA_SG_RKT3_T4_EUlidE0_EEvlNS_15PhiloxCudaStateESF_SG_
                                        ; -- End function
	.section	.AMDGPU.csdata,"",@progbits
; Kernel info:
; codeLenInByte = 3364
; NumSgprs: 73
; NumVgprs: 41
; NumAgprs: 0
; TotalNumVgprs: 41
; ScratchSize: 0
; MemoryBound: 0
; FloatMode: 240
; IeeeMode: 1
; LDSByteSize: 0 bytes/workgroup (compile time only)
; SGPRBlocks: 9
; VGPRBlocks: 5
; NumSGPRsForWavesPerEU: 73
; NumVGPRsForWavesPerEU: 41
; AccumOffset: 44
; Occupancy: 8
; WaveLimiterHint : 1
; COMPUTE_PGM_RSRC2:SCRATCH_EN: 0
; COMPUTE_PGM_RSRC2:USER_SGPR: 6
; COMPUTE_PGM_RSRC2:TRAP_HANDLER: 0
; COMPUTE_PGM_RSRC2:TGID_X_EN: 1
; COMPUTE_PGM_RSRC2:TGID_Y_EN: 0
; COMPUTE_PGM_RSRC2:TGID_Z_EN: 0
; COMPUTE_PGM_RSRC2:TIDIG_COMP_CNT: 0
; COMPUTE_PGM_RSRC3_GFX90A:ACCUM_OFFSET: 10
; COMPUTE_PGM_RSRC3_GFX90A:TG_SPLIT: 0
	.section	.text._ZN2at6native12_GLOBAL__N_143distribution_elementwise_grid_stride_kernelIdLi2EZNS0_9templates4cuda21uniform_and_transformIddPNS_17CUDAGeneratorImplEZZZNS4_14uniform_kernelIS7_EEvRNS_18TensorIteratorBaseEddT_ENKUlvE_clEvENKUlvE_clEvEUldE_EEvSA_T1_T2_EUlP25hiprandStatePhilox4_32_10E0_ZNS1_27distribution_nullary_kernelIdd15HIP_vector_typeIfLj4EES7_SJ_SE_EEvSA_SG_RKT3_T4_EUlidE_EEvlNS_15PhiloxCudaStateESF_SG_,"axG",@progbits,_ZN2at6native12_GLOBAL__N_143distribution_elementwise_grid_stride_kernelIdLi2EZNS0_9templates4cuda21uniform_and_transformIddPNS_17CUDAGeneratorImplEZZZNS4_14uniform_kernelIS7_EEvRNS_18TensorIteratorBaseEddT_ENKUlvE_clEvENKUlvE_clEvEUldE_EEvSA_T1_T2_EUlP25hiprandStatePhilox4_32_10E0_ZNS1_27distribution_nullary_kernelIdd15HIP_vector_typeIfLj4EES7_SJ_SE_EEvSA_SG_RKT3_T4_EUlidE_EEvlNS_15PhiloxCudaStateESF_SG_,comdat
	.globl	_ZN2at6native12_GLOBAL__N_143distribution_elementwise_grid_stride_kernelIdLi2EZNS0_9templates4cuda21uniform_and_transformIddPNS_17CUDAGeneratorImplEZZZNS4_14uniform_kernelIS7_EEvRNS_18TensorIteratorBaseEddT_ENKUlvE_clEvENKUlvE_clEvEUldE_EEvSA_T1_T2_EUlP25hiprandStatePhilox4_32_10E0_ZNS1_27distribution_nullary_kernelIdd15HIP_vector_typeIfLj4EES7_SJ_SE_EEvSA_SG_RKT3_T4_EUlidE_EEvlNS_15PhiloxCudaStateESF_SG_ ; -- Begin function _ZN2at6native12_GLOBAL__N_143distribution_elementwise_grid_stride_kernelIdLi2EZNS0_9templates4cuda21uniform_and_transformIddPNS_17CUDAGeneratorImplEZZZNS4_14uniform_kernelIS7_EEvRNS_18TensorIteratorBaseEddT_ENKUlvE_clEvENKUlvE_clEvEUldE_EEvSA_T1_T2_EUlP25hiprandStatePhilox4_32_10E0_ZNS1_27distribution_nullary_kernelIdd15HIP_vector_typeIfLj4EES7_SJ_SE_EEvSA_SG_RKT3_T4_EUlidE_EEvlNS_15PhiloxCudaStateESF_SG_
	.p2align	8
	.type	_ZN2at6native12_GLOBAL__N_143distribution_elementwise_grid_stride_kernelIdLi2EZNS0_9templates4cuda21uniform_and_transformIddPNS_17CUDAGeneratorImplEZZZNS4_14uniform_kernelIS7_EEvRNS_18TensorIteratorBaseEddT_ENKUlvE_clEvENKUlvE_clEvEUldE_EEvSA_T1_T2_EUlP25hiprandStatePhilox4_32_10E0_ZNS1_27distribution_nullary_kernelIdd15HIP_vector_typeIfLj4EES7_SJ_SE_EEvSA_SG_RKT3_T4_EUlidE_EEvlNS_15PhiloxCudaStateESF_SG_,@function
_ZN2at6native12_GLOBAL__N_143distribution_elementwise_grid_stride_kernelIdLi2EZNS0_9templates4cuda21uniform_and_transformIddPNS_17CUDAGeneratorImplEZZZNS4_14uniform_kernelIS7_EEvRNS_18TensorIteratorBaseEddT_ENKUlvE_clEvENKUlvE_clEvEUldE_EEvSA_T1_T2_EUlP25hiprandStatePhilox4_32_10E0_ZNS1_27distribution_nullary_kernelIdd15HIP_vector_typeIfLj4EES7_SJ_SE_EEvSA_SG_RKT3_T4_EUlidE_EEvlNS_15PhiloxCudaStateESF_SG_: ; @_ZN2at6native12_GLOBAL__N_143distribution_elementwise_grid_stride_kernelIdLi2EZNS0_9templates4cuda21uniform_and_transformIddPNS_17CUDAGeneratorImplEZZZNS4_14uniform_kernelIS7_EEvRNS_18TensorIteratorBaseEddT_ENKUlvE_clEvENKUlvE_clEvEUldE_EEvSA_T1_T2_EUlP25hiprandStatePhilox4_32_10E0_ZNS1_27distribution_nullary_kernelIdd15HIP_vector_typeIfLj4EES7_SJ_SE_EEvSA_SG_RKT3_T4_EUlidE_EEvlNS_15PhiloxCudaStateESF_SG_
; %bb.0:
	s_load_dword s7, s[4:5], 0x20
	s_load_dwordx2 s[10:11], s[4:5], 0x10
	s_load_dwordx4 s[0:3], s[4:5], 0x0
	s_mov_b32 s8, 0
	s_waitcnt lgkmcnt(0)
	s_bitcmp0_b32 s7, 0
	v_pk_mov_b32 v[2:3], s[10:11], s[10:11] op_sel:[0,1]
	v_pk_mov_b32 v[10:11], s[2:3], s[2:3] op_sel:[0,1]
	s_cbranch_scc1 .LBB2_2
; %bb.1:
	v_pk_mov_b32 v[2:3], s[10:11], s[10:11] op_sel:[0,1]
	flat_load_dwordx2 v[2:3], v[2:3]
	v_pk_mov_b32 v[4:5], s[2:3], s[2:3] op_sel:[0,1]
	flat_load_dwordx2 v[10:11], v[4:5]
	s_load_dwordx2 s[2:3], s[4:5], 0x18
	s_waitcnt lgkmcnt(0)
	v_mov_b32_e32 v1, s3
	s_waitcnt vmcnt(0)
	v_add_co_u32_e32 v2, vcc, s2, v2
	v_addc_co_u32_e32 v3, vcc, v3, v1, vcc
.LBB2_2:
	s_load_dword s2, s[4:5], 0x64
	s_load_dword s16, s[4:5], 0x58
	s_waitcnt lgkmcnt(0)
	s_and_b32 s7, s2, 0xffff
	s_add_u32 s10, s0, -1
	s_mul_i32 s18, s16, s7
	s_addc_u32 s9, s1, -1
	s_lshl_b32 s19, s18, 1
	s_cmp_lg_u64 s[8:9], 0
	s_mov_b64 s[2:3], -1
	s_cbranch_scc0 .LBB2_23
; %bb.3:
	v_cvt_f32_u32_e32 v1, s19
	v_cvt_f32_ubyte0_e32 v4, 0
	s_sub_u32 s8, 0, s19
	s_subb_u32 s11, 0, 0
	v_madmk_f32 v1, v4, 0x4f800000, v1
	v_rcp_f32_e32 v1, v1
	v_mul_f32_e32 v1, 0x5f7ffffc, v1
	v_mul_f32_e32 v4, 0x2f800000, v1
	v_trunc_f32_e32 v4, v4
	v_madmk_f32 v1, v4, 0xcf800000, v1
	v_cvt_u32_f32_e32 v4, v4
	v_cvt_u32_f32_e32 v1, v1
	v_readfirstlane_b32 s12, v4
	v_readfirstlane_b32 s13, v1
	s_mul_i32 s14, s8, s12
	s_mul_hi_u32 s17, s8, s13
	s_mul_i32 s15, s11, s13
	s_add_i32 s14, s17, s14
	s_add_i32 s14, s14, s15
	s_mul_i32 s20, s8, s13
	s_mul_hi_u32 s15, s13, s14
	s_mul_i32 s17, s13, s14
	s_mul_hi_u32 s13, s13, s20
	s_add_u32 s13, s13, s17
	s_addc_u32 s15, 0, s15
	s_mul_hi_u32 s21, s12, s20
	s_mul_i32 s20, s12, s20
	s_add_u32 s13, s13, s20
	s_mul_hi_u32 s17, s12, s14
	s_addc_u32 s13, s15, s21
	s_addc_u32 s15, s17, 0
	s_mul_i32 s14, s12, s14
	s_add_u32 s13, s13, s14
	s_addc_u32 s14, 0, s15
	v_add_co_u32_e32 v1, vcc, s13, v1
	s_cmp_lg_u64 vcc, 0
	s_addc_u32 s12, s12, s14
	v_readfirstlane_b32 s14, v1
	s_mul_i32 s13, s8, s12
	s_mul_hi_u32 s15, s8, s14
	s_add_i32 s13, s15, s13
	s_mul_i32 s11, s11, s14
	s_add_i32 s13, s13, s11
	s_mul_i32 s8, s8, s14
	s_mul_hi_u32 s15, s12, s8
	s_mul_i32 s17, s12, s8
	s_mul_i32 s21, s14, s13
	s_mul_hi_u32 s8, s14, s8
	s_mul_hi_u32 s20, s14, s13
	s_add_u32 s8, s8, s21
	s_addc_u32 s14, 0, s20
	s_add_u32 s8, s8, s17
	s_mul_hi_u32 s11, s12, s13
	s_addc_u32 s8, s14, s15
	s_addc_u32 s11, s11, 0
	s_mul_i32 s13, s12, s13
	s_add_u32 s8, s8, s13
	s_addc_u32 s11, 0, s11
	v_add_co_u32_e32 v1, vcc, s8, v1
	s_cmp_lg_u64 vcc, 0
	s_addc_u32 s11, s12, s11
	s_ashr_i32 s12, s9, 31
	s_add_u32 s8, s10, s12
	s_mov_b32 s13, s12
	s_addc_u32 s9, s9, s12
	s_xor_b64 s[8:9], s[8:9], s[12:13]
	v_readfirstlane_b32 s17, v1
	s_mul_i32 s15, s8, s11
	s_mul_hi_u32 s20, s8, s17
	s_mul_hi_u32 s14, s8, s11
	s_add_u32 s15, s20, s15
	s_addc_u32 s14, 0, s14
	s_mul_hi_u32 s21, s9, s17
	s_mul_i32 s17, s9, s17
	s_add_u32 s15, s15, s17
	s_mul_hi_u32 s20, s9, s11
	s_addc_u32 s14, s14, s21
	s_addc_u32 s15, s20, 0
	s_mul_i32 s11, s9, s11
	s_add_u32 s11, s14, s11
	s_addc_u32 s14, 0, s15
	s_add_u32 s15, s11, 1
	s_addc_u32 s17, s14, 0
	s_add_u32 s20, s11, 2
	s_mul_i32 s22, s19, s14
	s_mul_hi_u32 s23, s19, s11
	s_addc_u32 s21, s14, 0
	s_add_i32 s23, s23, s22
	s_mul_i32 s22, s19, s11
	v_mov_b32_e32 v1, s22
	v_sub_co_u32_e32 v1, vcc, s8, v1
	s_cmp_lg_u64 vcc, 0
	s_subb_u32 s8, s9, s23
	v_subrev_co_u32_e32 v4, vcc, s19, v1
	s_cmp_lg_u64 vcc, 0
	s_subb_u32 s9, s8, 0
	v_readfirstlane_b32 s22, v4
	s_cmp_ge_u32 s22, s19
	s_cselect_b32 s22, -1, 0
	s_cmp_eq_u32 s9, 0
	s_cselect_b32 s9, s22, -1
	s_cmp_lg_u32 s9, 0
	s_cselect_b32 s9, s21, s17
	v_readfirstlane_b32 s17, v1
	s_cselect_b32 s15, s20, s15
	s_cmp_ge_u32 s17, s19
	s_cselect_b32 s17, -1, 0
	s_cmp_eq_u32 s8, 0
	s_cselect_b32 s8, s17, -1
	s_cmp_lg_u32 s8, 0
	s_cselect_b32 s9, s9, s14
	s_cselect_b32 s8, s15, s11
	s_xor_b64 s[8:9], s[8:9], s[12:13]
	s_sub_u32 s8, s8, s12
	s_subb_u32 s9, s9, s12
	s_cbranch_execnz .LBB2_5
.LBB2_4:
	v_cvt_f32_u32_e32 v1, s19
	s_sub_i32 s2, 0, s19
	s_mov_b32 s9, 0
	v_rcp_iflag_f32_e32 v1, v1
	v_mul_f32_e32 v1, 0x4f7ffffe, v1
	v_cvt_u32_f32_e32 v1, v1
	v_readfirstlane_b32 s3, v1
	s_mul_i32 s2, s2, s3
	s_mul_hi_u32 s2, s3, s2
	s_add_i32 s3, s3, s2
	s_mul_hi_u32 s2, s10, s3
	s_mul_i32 s8, s2, s19
	s_sub_i32 s8, s10, s8
	s_add_i32 s3, s2, 1
	s_sub_i32 s10, s8, s19
	s_cmp_ge_u32 s8, s19
	s_cselect_b32 s2, s3, s2
	s_cselect_b32 s8, s10, s8
	s_add_i32 s3, s2, 1
	s_cmp_ge_u32 s8, s19
	s_cselect_b32 s8, s3, s2
.LBB2_5:
	v_mov_b32_e32 v1, 0
	v_mov_b32_e32 v4, s6
	v_mad_u64_u32 v[12:13], s[2:3], s7, v4, v[0:1]
	s_add_u32 s2, s8, 1
	s_addc_u32 s3, s9, 0
	s_mul_hi_u32 s8, s16, s7
	s_mul_i32 s3, s18, s3
	s_mul_hi_u32 s9, s18, s2
	s_add_i32 s3, s9, s3
	s_mul_i32 s8, s8, s2
	s_add_i32 s3, s3, s8
	s_mul_i32 s2, s18, s2
	s_lshl_b64 s[2:3], s[2:3], 1
	v_cmp_gt_i64_e32 vcc, s[2:3], v[12:13]
	s_and_saveexec_b64 s[8:9], vcc
	s_cbranch_execz .LBB2_22
; %bb.6:
	s_load_dwordx2 s[12:13], s[4:5], 0x50
	s_load_dwordx4 s[8:11], s[4:5], 0x40
	s_load_dwordx2 s[14:15], s[4:5], 0x30
	s_load_dword s17, s[4:5], 0x38
	v_mov_b32_e32 v4, v11
	s_mov_b32 s4, 0xdb3d7428
	v_add_co_u32_e32 v17, vcc, s4, v4
	s_mov_b32 s4, 0x5384540f
	v_add_co_u32_e32 v18, vcc, s4, v10
	;; [unrolled: 2-line block ×7, first 2 shown]
	s_mov_b32 s4, 0x9e3779b9
	v_alignbit_b32 v25, v3, v2, 2
	s_mov_b32 s21, 0xd2511f53
	v_add_co_u32_e32 v24, vcc, s4, v10
	v_mad_u64_u32 v[6:7], s[4:5], v25, s21, 0
	v_xor_b32_e32 v1, v7, v11
	v_xor_b32_e32 v1, v1, v13
	s_mov_b32 s22, 0xcd9e8d57
	v_mad_u64_u32 v[8:9], s[4:5], v1, s22, 0
	v_xor_b32_e32 v1, v24, v9
	v_mad_u64_u32 v[26:27], s[4:5], v12, s22, 0
	v_and_b32_e32 v14, 3, v2
	v_xor_b32_e32 v1, v1, v26
	v_xor_b32_e32 v2, v10, v27
	v_lshrrev_b32_e32 v26, 2, v3
	v_mad_u64_u32 v[30:31], s[4:5], v1, s21, 0
	v_xor_b32_e32 v2, v2, v26
	v_xor_b32_e32 v1, v23, v31
	v_mad_u64_u32 v[2:3], s[4:5], v2, s21, 0
	v_xor_b32_e32 v1, v1, v2
	v_mad_u64_u32 v[32:33], s[4:5], v1, s22, 0
	s_mov_b32 s4, 0xbb67ae85
	v_add_co_u32_e32 v27, vcc, s4, v4
	v_xor_b32_e32 v2, v27, v3
	v_xor_b32_e32 v2, v2, v6
	v_xor_b32_e32 v1, v22, v33
	v_mad_u64_u32 v[2:3], s[4:5], v2, s22, 0
	v_xor_b32_e32 v1, v1, v2
	v_mad_u64_u32 v[6:7], s[4:5], v1, s21, 0
	s_mov_b32 s4, 0x3c6ef372
	v_add_co_u32_e32 v28, vcc, s4, v10
	v_xor_b32_e32 v2, v28, v3
	;; [unrolled: 8-line block ×7, first 2 shown]
	v_xor_b32_e32 v1, v1, v34
	v_mad_u64_u32 v[2:3], s[4:5], v1, s22, 0
	s_mov_b32 s4, 0xf1bbcdc8
	v_add_u32_e32 v15, 0x8ff34781, v10
	v_xor_b32_e32 v1, v9, v2
	v_add_co_u32_e32 v34, vcc, s4, v10
	v_xor_b32_e32 v2, v15, v1
	v_xor_b32_e32 v1, v34, v3
	v_xor_b32_e32 v1, v1, v36
	v_mad_u64_u32 v[36:37], s[4:5], v1, s21, 0
	v_add_u32_e32 v16, 0x96a522ad, v11
	v_xor_b32_e32 v1, v37, v6
	s_mul_i32 s4, s6, s7
	v_xor_b32_e32 v4, v16, v1
	v_add_u32_e32 v1, s4, v0
	s_waitcnt lgkmcnt(0)
	s_mul_i32 s4, s16, s17
	s_mul_i32 s4, s4, s7
	s_lshl_b32 s23, s4, 1
	s_add_i32 s4, s6, s16
	s_mul_i32 s4, s4, s7
	s_mov_b32 s20, 0
	v_add_u32_e32 v0, s4, v0
	v_mov_b32_e32 v3, v8
	v_mov_b32_e32 v5, v36
	v_mul_lo_u32 v35, s17, v1
	v_mul_lo_u32 v36, s17, v0
	s_mov_b64 s[4:5], 0
	s_mov_b32 s24, s20
	v_mov_b32_e32 v37, v12
	v_mov_b32_e32 v38, v13
	s_branch .LBB2_8
.LBB2_7:                                ;   in Loop: Header=BB2_8 Depth=1
	s_or_b64 exec, exec, s[6:7]
	v_add_co_u32_e32 v12, vcc, s19, v12
	v_addc_co_u32_e32 v13, vcc, 0, v13, vcc
	v_mov_b32_e32 v9, v0
	s_add_i32 s24, s24, s23
	v_cmp_le_i64_e32 vcc, s[2:3], v[12:13]
	v_pk_mov_b32 v[2:3], v[6:7], v[6:7] op_sel:[0,1]
	s_or_b64 s[4:5], vcc, s[4:5]
	v_pk_mov_b32 v[4:5], v[8:9], v[8:9] op_sel:[0,1]
	s_barrier
	s_andn2_b64 exec, exec, s[4:5]
	s_cbranch_execz .LBB2_22
.LBB2_8:                                ; =>This Inner Loop Header: Depth=1
	v_add_co_u32_e32 v25, vcc, 1, v25
	v_cndmask_b32_e64 v0, 0, 1, vcc
	v_addc_co_u32_e32 v26, vcc, 0, v26, vcc
	v_cmp_eq_u32_e32 vcc, 0, v26
	v_cndmask_b32_e32 v0, 0, v0, vcc
	v_add_u32_e32 v37, v0, v37
	v_cmp_eq_u32_e32 vcc, 0, v37
	v_cndmask_b32_e32 v0, 0, v0, vcc
	v_add_u32_e32 v38, v0, v38
	v_mad_u64_u32 v[0:1], s[6:7], v25, s21, 0
	v_mad_u64_u32 v[6:7], s[6:7], v37, s22, 0
	v_xor_b32_e32 v1, v1, v11
	v_xor_b32_e32 v7, v7, v10
	v_xor_b32_e32 v1, v38, v1
	v_xor_b32_e32 v7, v26, v7
	v_mad_u64_u32 v[40:41], s[6:7], v1, s22, 0
	v_mad_u64_u32 v[8:9], s[6:7], v7, s21, 0
	v_xor_b32_e32 v1, v24, v41
	v_xor_b32_e32 v1, v1, v6
	v_xor_b32_e32 v6, v27, v9
	v_xor_b32_e32 v6, v6, v0
	;; [unrolled: 6-line block ×10, first 2 shown]
	v_mov_b32_e32 v7, v40
	v_cmp_lt_i32_e32 vcc, 1, v14
	s_and_saveexec_b64 s[6:7], vcc
	s_xor_b64 s[6:7], exec, s[6:7]
	s_cbranch_execnz .LBB2_14
; %bb.9:                                ;   in Loop: Header=BB2_8 Depth=1
	s_andn2_saveexec_b64 s[6:7], s[6:7]
	s_cbranch_execnz .LBB2_19
.LBB2_10:                               ;   in Loop: Header=BB2_8 Depth=1
	s_or_b64 exec, exec, s[6:7]
	v_cmp_gt_i64_e32 vcc, s[0:1], v[12:13]
	s_and_saveexec_b64 s[6:7], vcc
	s_cbranch_execz .LBB2_12
.LBB2_11:                               ;   in Loop: Header=BB2_8 Depth=1
	v_cvt_f32_u32_e32 v1, v2
	v_mov_b32_e32 v2, 0x2f800000
	v_add_u32_e32 v9, s24, v35
	v_ashrrev_i32_e32 v39, 31, v9
	v_fmac_f32_e32 v2, 0x2f800000, v1
	v_cvt_f64_f32_e32 v[4:5], v2
	v_mov_b32_e32 v1, s15
	v_add_co_u32_e32 v40, vcc, s14, v9
	v_pk_mov_b32 v[42:43], s[10:11], s[10:11] op_sel:[0,1]
	v_addc_co_u32_e32 v41, vcc, v1, v39, vcc
	v_fma_f64 v[4:5], s[8:9], v[4:5], v[42:43]
	v_mov_b32_e32 v1, s11
	v_cmp_eq_f64_e32 vcc, s[12:13], v[4:5]
	v_cndmask_b32_e32 v5, v5, v1, vcc
	v_mov_b32_e32 v1, s10
	v_cndmask_b32_e32 v4, v4, v1, vcc
	global_store_dwordx2 v[40:41], v[4:5], off
.LBB2_12:                               ;   in Loop: Header=BB2_8 Depth=1
	s_or_b64 exec, exec, s[6:7]
	v_mov_b32_e32 v1, s20
	v_add_co_u32_e32 v4, vcc, s18, v12
	v_addc_co_u32_e32 v5, vcc, v1, v13, vcc
	v_cmp_gt_i64_e32 vcc, s[0:1], v[4:5]
	s_and_saveexec_b64 s[6:7], vcc
	s_cbranch_execz .LBB2_7
; %bb.13:                               ;   in Loop: Header=BB2_8 Depth=1
	v_cvt_f32_u32_e32 v1, v3
	v_mov_b32_e32 v2, 0x2f800000
	v_add_u32_e32 v4, s24, v36
	v_ashrrev_i32_e32 v5, 31, v4
	v_fmac_f32_e32 v2, 0x2f800000, v1
	v_cvt_f64_f32_e32 v[2:3], v2
	v_mov_b32_e32 v1, s15
	v_add_co_u32_e32 v4, vcc, s14, v4
	v_pk_mov_b32 v[40:41], s[10:11], s[10:11] op_sel:[0,1]
	v_addc_co_u32_e32 v5, vcc, v1, v5, vcc
	v_fma_f64 v[2:3], s[8:9], v[2:3], v[40:41]
	v_mov_b32_e32 v1, s11
	v_cmp_eq_f64_e32 vcc, s[12:13], v[2:3]
	v_cndmask_b32_e32 v3, v3, v1, vcc
	v_mov_b32_e32 v1, s10
	v_cndmask_b32_e32 v2, v2, v1, vcc
	global_store_dwordx2 v[4:5], v[2:3], off
	s_branch .LBB2_7
.LBB2_14:                               ;   in Loop: Header=BB2_8 Depth=1
	v_cmp_lt_i32_e32 vcc, 2, v14
	s_and_saveexec_b64 s[16:17], vcc
	s_xor_b64 s[16:17], exec, s[16:17]
; %bb.15:                               ;   in Loop: Header=BB2_8 Depth=1
	v_mov_b32_e32 v2, v5
	v_mov_b32_e32 v3, v6
; %bb.16:                               ;   in Loop: Header=BB2_8 Depth=1
	s_andn2_saveexec_b64 s[16:17], s[16:17]
; %bb.17:                               ;   in Loop: Header=BB2_8 Depth=1
	v_mov_b32_e32 v2, v4
	v_mov_b32_e32 v3, v5
; %bb.18:                               ;   in Loop: Header=BB2_8 Depth=1
	s_or_b64 exec, exec, s[16:17]
	s_andn2_saveexec_b64 s[6:7], s[6:7]
	s_cbranch_execz .LBB2_10
.LBB2_19:                               ;   in Loop: Header=BB2_8 Depth=1
	v_cmp_eq_u32_e32 vcc, 1, v14
	s_and_saveexec_b64 s[16:17], vcc
; %bb.20:                               ;   in Loop: Header=BB2_8 Depth=1
	v_mov_b32_e32 v2, v3
	v_mov_b32_e32 v3, v4
; %bb.21:                               ;   in Loop: Header=BB2_8 Depth=1
	s_or_b64 exec, exec, s[16:17]
	s_or_b64 exec, exec, s[6:7]
	v_cmp_gt_i64_e32 vcc, s[0:1], v[12:13]
	s_and_saveexec_b64 s[6:7], vcc
	s_cbranch_execnz .LBB2_11
	s_branch .LBB2_12
.LBB2_22:
	s_endpgm
.LBB2_23:
                                        ; implicit-def: $sgpr8_sgpr9
	s_andn2_b64 vcc, exec, s[2:3]
	s_cbranch_vccz .LBB2_4
	s_branch .LBB2_5
	.section	.rodata,"a",@progbits
	.p2align	6, 0x0
	.amdhsa_kernel _ZN2at6native12_GLOBAL__N_143distribution_elementwise_grid_stride_kernelIdLi2EZNS0_9templates4cuda21uniform_and_transformIddPNS_17CUDAGeneratorImplEZZZNS4_14uniform_kernelIS7_EEvRNS_18TensorIteratorBaseEddT_ENKUlvE_clEvENKUlvE_clEvEUldE_EEvSA_T1_T2_EUlP25hiprandStatePhilox4_32_10E0_ZNS1_27distribution_nullary_kernelIdd15HIP_vector_typeIfLj4EES7_SJ_SE_EEvSA_SG_RKT3_T4_EUlidE_EEvlNS_15PhiloxCudaStateESF_SG_
		.amdhsa_group_segment_fixed_size 0
		.amdhsa_private_segment_fixed_size 0
		.amdhsa_kernarg_size 344
		.amdhsa_user_sgpr_count 6
		.amdhsa_user_sgpr_private_segment_buffer 1
		.amdhsa_user_sgpr_dispatch_ptr 0
		.amdhsa_user_sgpr_queue_ptr 0
		.amdhsa_user_sgpr_kernarg_segment_ptr 1
		.amdhsa_user_sgpr_dispatch_id 0
		.amdhsa_user_sgpr_flat_scratch_init 0
		.amdhsa_user_sgpr_kernarg_preload_length 0
		.amdhsa_user_sgpr_kernarg_preload_offset 0
		.amdhsa_user_sgpr_private_segment_size 0
		.amdhsa_uses_dynamic_stack 0
		.amdhsa_system_sgpr_private_segment_wavefront_offset 0
		.amdhsa_system_sgpr_workgroup_id_x 1
		.amdhsa_system_sgpr_workgroup_id_y 0
		.amdhsa_system_sgpr_workgroup_id_z 0
		.amdhsa_system_sgpr_workgroup_info 0
		.amdhsa_system_vgpr_workitem_id 0
		.amdhsa_next_free_vgpr 44
		.amdhsa_next_free_sgpr 25
		.amdhsa_accum_offset 44
		.amdhsa_reserve_vcc 1
		.amdhsa_reserve_flat_scratch 0
		.amdhsa_float_round_mode_32 0
		.amdhsa_float_round_mode_16_64 0
		.amdhsa_float_denorm_mode_32 3
		.amdhsa_float_denorm_mode_16_64 3
		.amdhsa_dx10_clamp 1
		.amdhsa_ieee_mode 1
		.amdhsa_fp16_overflow 0
		.amdhsa_tg_split 0
		.amdhsa_exception_fp_ieee_invalid_op 0
		.amdhsa_exception_fp_denorm_src 0
		.amdhsa_exception_fp_ieee_div_zero 0
		.amdhsa_exception_fp_ieee_overflow 0
		.amdhsa_exception_fp_ieee_underflow 0
		.amdhsa_exception_fp_ieee_inexact 0
		.amdhsa_exception_int_div_zero 0
	.end_amdhsa_kernel
	.section	.text._ZN2at6native12_GLOBAL__N_143distribution_elementwise_grid_stride_kernelIdLi2EZNS0_9templates4cuda21uniform_and_transformIddPNS_17CUDAGeneratorImplEZZZNS4_14uniform_kernelIS7_EEvRNS_18TensorIteratorBaseEddT_ENKUlvE_clEvENKUlvE_clEvEUldE_EEvSA_T1_T2_EUlP25hiprandStatePhilox4_32_10E0_ZNS1_27distribution_nullary_kernelIdd15HIP_vector_typeIfLj4EES7_SJ_SE_EEvSA_SG_RKT3_T4_EUlidE_EEvlNS_15PhiloxCudaStateESF_SG_,"axG",@progbits,_ZN2at6native12_GLOBAL__N_143distribution_elementwise_grid_stride_kernelIdLi2EZNS0_9templates4cuda21uniform_and_transformIddPNS_17CUDAGeneratorImplEZZZNS4_14uniform_kernelIS7_EEvRNS_18TensorIteratorBaseEddT_ENKUlvE_clEvENKUlvE_clEvEUldE_EEvSA_T1_T2_EUlP25hiprandStatePhilox4_32_10E0_ZNS1_27distribution_nullary_kernelIdd15HIP_vector_typeIfLj4EES7_SJ_SE_EEvSA_SG_RKT3_T4_EUlidE_EEvlNS_15PhiloxCudaStateESF_SG_,comdat
.Lfunc_end2:
	.size	_ZN2at6native12_GLOBAL__N_143distribution_elementwise_grid_stride_kernelIdLi2EZNS0_9templates4cuda21uniform_and_transformIddPNS_17CUDAGeneratorImplEZZZNS4_14uniform_kernelIS7_EEvRNS_18TensorIteratorBaseEddT_ENKUlvE_clEvENKUlvE_clEvEUldE_EEvSA_T1_T2_EUlP25hiprandStatePhilox4_32_10E0_ZNS1_27distribution_nullary_kernelIdd15HIP_vector_typeIfLj4EES7_SJ_SE_EEvSA_SG_RKT3_T4_EUlidE_EEvlNS_15PhiloxCudaStateESF_SG_, .Lfunc_end2-_ZN2at6native12_GLOBAL__N_143distribution_elementwise_grid_stride_kernelIdLi2EZNS0_9templates4cuda21uniform_and_transformIddPNS_17CUDAGeneratorImplEZZZNS4_14uniform_kernelIS7_EEvRNS_18TensorIteratorBaseEddT_ENKUlvE_clEvENKUlvE_clEvEUldE_EEvSA_T1_T2_EUlP25hiprandStatePhilox4_32_10E0_ZNS1_27distribution_nullary_kernelIdd15HIP_vector_typeIfLj4EES7_SJ_SE_EEvSA_SG_RKT3_T4_EUlidE_EEvlNS_15PhiloxCudaStateESF_SG_
                                        ; -- End function
	.section	.AMDGPU.csdata,"",@progbits
; Kernel info:
; codeLenInByte = 2264
; NumSgprs: 29
; NumVgprs: 44
; NumAgprs: 0
; TotalNumVgprs: 44
; ScratchSize: 0
; MemoryBound: 0
; FloatMode: 240
; IeeeMode: 1
; LDSByteSize: 0 bytes/workgroup (compile time only)
; SGPRBlocks: 3
; VGPRBlocks: 5
; NumSGPRsForWavesPerEU: 29
; NumVGPRsForWavesPerEU: 44
; AccumOffset: 44
; Occupancy: 8
; WaveLimiterHint : 0
; COMPUTE_PGM_RSRC2:SCRATCH_EN: 0
; COMPUTE_PGM_RSRC2:USER_SGPR: 6
; COMPUTE_PGM_RSRC2:TRAP_HANDLER: 0
; COMPUTE_PGM_RSRC2:TGID_X_EN: 1
; COMPUTE_PGM_RSRC2:TGID_Y_EN: 0
; COMPUTE_PGM_RSRC2:TGID_Z_EN: 0
; COMPUTE_PGM_RSRC2:TIDIG_COMP_CNT: 0
; COMPUTE_PGM_RSRC3_GFX90A:ACCUM_OFFSET: 10
; COMPUTE_PGM_RSRC3_GFX90A:TG_SPLIT: 0
	.section	.text._ZN2at6native12_GLOBAL__N_143distribution_elementwise_grid_stride_kernelIdLi2EZNS0_9templates4cuda21uniform_and_transformIddPNS_17CUDAGeneratorImplEZZZNS4_14uniform_kernelIS7_EEvRNS_18TensorIteratorBaseEddT_ENKUlvE_clEvENKUlvE_clEvEUldE_EEvSA_T1_T2_EUlP25hiprandStatePhilox4_32_10E0_ZNS1_27distribution_nullary_kernelIdd15HIP_vector_typeIfLj4EES7_SJ_SE_EEvSA_SG_RKT3_T4_EUlidE0_EEvlNS_15PhiloxCudaStateESF_SG_,"axG",@progbits,_ZN2at6native12_GLOBAL__N_143distribution_elementwise_grid_stride_kernelIdLi2EZNS0_9templates4cuda21uniform_and_transformIddPNS_17CUDAGeneratorImplEZZZNS4_14uniform_kernelIS7_EEvRNS_18TensorIteratorBaseEddT_ENKUlvE_clEvENKUlvE_clEvEUldE_EEvSA_T1_T2_EUlP25hiprandStatePhilox4_32_10E0_ZNS1_27distribution_nullary_kernelIdd15HIP_vector_typeIfLj4EES7_SJ_SE_EEvSA_SG_RKT3_T4_EUlidE0_EEvlNS_15PhiloxCudaStateESF_SG_,comdat
	.globl	_ZN2at6native12_GLOBAL__N_143distribution_elementwise_grid_stride_kernelIdLi2EZNS0_9templates4cuda21uniform_and_transformIddPNS_17CUDAGeneratorImplEZZZNS4_14uniform_kernelIS7_EEvRNS_18TensorIteratorBaseEddT_ENKUlvE_clEvENKUlvE_clEvEUldE_EEvSA_T1_T2_EUlP25hiprandStatePhilox4_32_10E0_ZNS1_27distribution_nullary_kernelIdd15HIP_vector_typeIfLj4EES7_SJ_SE_EEvSA_SG_RKT3_T4_EUlidE0_EEvlNS_15PhiloxCudaStateESF_SG_ ; -- Begin function _ZN2at6native12_GLOBAL__N_143distribution_elementwise_grid_stride_kernelIdLi2EZNS0_9templates4cuda21uniform_and_transformIddPNS_17CUDAGeneratorImplEZZZNS4_14uniform_kernelIS7_EEvRNS_18TensorIteratorBaseEddT_ENKUlvE_clEvENKUlvE_clEvEUldE_EEvSA_T1_T2_EUlP25hiprandStatePhilox4_32_10E0_ZNS1_27distribution_nullary_kernelIdd15HIP_vector_typeIfLj4EES7_SJ_SE_EEvSA_SG_RKT3_T4_EUlidE0_EEvlNS_15PhiloxCudaStateESF_SG_
	.p2align	8
	.type	_ZN2at6native12_GLOBAL__N_143distribution_elementwise_grid_stride_kernelIdLi2EZNS0_9templates4cuda21uniform_and_transformIddPNS_17CUDAGeneratorImplEZZZNS4_14uniform_kernelIS7_EEvRNS_18TensorIteratorBaseEddT_ENKUlvE_clEvENKUlvE_clEvEUldE_EEvSA_T1_T2_EUlP25hiprandStatePhilox4_32_10E0_ZNS1_27distribution_nullary_kernelIdd15HIP_vector_typeIfLj4EES7_SJ_SE_EEvSA_SG_RKT3_T4_EUlidE0_EEvlNS_15PhiloxCudaStateESF_SG_,@function
_ZN2at6native12_GLOBAL__N_143distribution_elementwise_grid_stride_kernelIdLi2EZNS0_9templates4cuda21uniform_and_transformIddPNS_17CUDAGeneratorImplEZZZNS4_14uniform_kernelIS7_EEvRNS_18TensorIteratorBaseEddT_ENKUlvE_clEvENKUlvE_clEvEUldE_EEvSA_T1_T2_EUlP25hiprandStatePhilox4_32_10E0_ZNS1_27distribution_nullary_kernelIdd15HIP_vector_typeIfLj4EES7_SJ_SE_EEvSA_SG_RKT3_T4_EUlidE0_EEvlNS_15PhiloxCudaStateESF_SG_: ; @_ZN2at6native12_GLOBAL__N_143distribution_elementwise_grid_stride_kernelIdLi2EZNS0_9templates4cuda21uniform_and_transformIddPNS_17CUDAGeneratorImplEZZZNS4_14uniform_kernelIS7_EEvRNS_18TensorIteratorBaseEddT_ENKUlvE_clEvENKUlvE_clEvEUldE_EEvSA_T1_T2_EUlP25hiprandStatePhilox4_32_10E0_ZNS1_27distribution_nullary_kernelIdd15HIP_vector_typeIfLj4EES7_SJ_SE_EEvSA_SG_RKT3_T4_EUlidE0_EEvlNS_15PhiloxCudaStateESF_SG_
; %bb.0:
	s_load_dword s2, s[4:5], 0x20
	s_load_dwordx2 s[0:1], s[4:5], 0x10
	s_load_dwordx4 s[36:39], s[4:5], 0x0
	s_waitcnt lgkmcnt(0)
	s_bitcmp0_b32 s2, 0
	s_mov_b32 s2, 0
	v_pk_mov_b32 v[2:3], s[0:1], s[0:1] op_sel:[0,1]
	v_pk_mov_b32 v[8:9], s[38:39], s[38:39] op_sel:[0,1]
	s_cbranch_scc1 .LBB3_2
; %bb.1:
	v_pk_mov_b32 v[2:3], s[0:1], s[0:1] op_sel:[0,1]
	flat_load_dwordx2 v[2:3], v[2:3]
	v_pk_mov_b32 v[4:5], s[38:39], s[38:39] op_sel:[0,1]
	flat_load_dwordx2 v[8:9], v[4:5]
	s_load_dwordx2 s[0:1], s[4:5], 0x18
	s_waitcnt lgkmcnt(0)
	v_mov_b32_e32 v1, s1
	s_waitcnt vmcnt(0)
	v_add_co_u32_e32 v2, vcc, s0, v2
	v_addc_co_u32_e32 v3, vcc, v3, v1, vcc
.LBB3_2:
	s_load_dword s0, s[4:5], 0x164
	s_load_dword s7, s[4:5], 0x158
	s_waitcnt lgkmcnt(0)
	s_and_b32 s8, s0, 0xffff
	s_add_u32 s9, s36, -1
	s_mul_i32 s33, s7, s8
	s_addc_u32 s3, s37, -1
	s_lshl_b32 s64, s33, 1
	s_cmp_lg_u64 s[2:3], 0
	s_mov_b64 s[0:1], -1
	s_cbranch_scc0 .LBB3_51
; %bb.3:
	v_cvt_f32_u32_e32 v1, s64
	v_cvt_f32_ubyte0_e32 v4, 0
	s_sub_u32 s2, 0, s64
	s_subb_u32 s10, 0, 0
	v_madmk_f32 v1, v4, 0x4f800000, v1
	v_rcp_f32_e32 v1, v1
	v_mul_f32_e32 v1, 0x5f7ffffc, v1
	v_mul_f32_e32 v4, 0x2f800000, v1
	v_trunc_f32_e32 v4, v4
	v_madmk_f32 v1, v4, 0xcf800000, v1
	v_cvt_u32_f32_e32 v4, v4
	v_cvt_u32_f32_e32 v1, v1
	v_readfirstlane_b32 s11, v4
	v_readfirstlane_b32 s12, v1
	s_mul_i32 s13, s2, s11
	s_mul_hi_u32 s15, s2, s12
	s_mul_i32 s14, s10, s12
	s_add_i32 s13, s15, s13
	s_add_i32 s13, s13, s14
	s_mul_i32 s16, s2, s12
	s_mul_hi_u32 s14, s12, s13
	s_mul_i32 s15, s12, s13
	s_mul_hi_u32 s12, s12, s16
	s_add_u32 s12, s12, s15
	s_addc_u32 s14, 0, s14
	s_mul_hi_u32 s17, s11, s16
	s_mul_i32 s16, s11, s16
	s_add_u32 s12, s12, s16
	s_mul_hi_u32 s15, s11, s13
	s_addc_u32 s12, s14, s17
	s_addc_u32 s14, s15, 0
	s_mul_i32 s13, s11, s13
	s_add_u32 s12, s12, s13
	s_addc_u32 s13, 0, s14
	v_add_co_u32_e32 v1, vcc, s12, v1
	s_cmp_lg_u64 vcc, 0
	s_addc_u32 s11, s11, s13
	v_readfirstlane_b32 s13, v1
	s_mul_i32 s12, s2, s11
	s_mul_hi_u32 s14, s2, s13
	s_add_i32 s12, s14, s12
	s_mul_i32 s10, s10, s13
	s_add_i32 s12, s12, s10
	s_mul_i32 s2, s2, s13
	s_mul_hi_u32 s14, s11, s2
	s_mul_i32 s15, s11, s2
	s_mul_i32 s17, s13, s12
	s_mul_hi_u32 s2, s13, s2
	s_mul_hi_u32 s16, s13, s12
	s_add_u32 s2, s2, s17
	s_addc_u32 s13, 0, s16
	s_add_u32 s2, s2, s15
	s_mul_hi_u32 s10, s11, s12
	s_addc_u32 s2, s13, s14
	s_addc_u32 s10, s10, 0
	s_mul_i32 s12, s11, s12
	s_add_u32 s2, s2, s12
	s_addc_u32 s10, 0, s10
	v_add_co_u32_e32 v1, vcc, s2, v1
	s_cmp_lg_u64 vcc, 0
	s_addc_u32 s12, s11, s10
	s_ashr_i32 s10, s3, 31
	s_add_u32 s2, s9, s10
	s_mov_b32 s11, s10
	s_addc_u32 s3, s3, s10
	s_xor_b64 s[2:3], s[2:3], s[10:11]
	v_readfirstlane_b32 s15, v1
	s_mul_i32 s14, s2, s12
	s_mul_hi_u32 s16, s2, s15
	s_mul_hi_u32 s13, s2, s12
	s_add_u32 s14, s16, s14
	s_addc_u32 s13, 0, s13
	s_mul_hi_u32 s17, s3, s15
	s_mul_i32 s15, s3, s15
	s_add_u32 s14, s14, s15
	s_mul_hi_u32 s16, s3, s12
	s_addc_u32 s13, s13, s17
	s_addc_u32 s14, s16, 0
	s_mul_i32 s12, s3, s12
	s_add_u32 s12, s13, s12
	s_addc_u32 s13, 0, s14
	s_add_u32 s14, s12, 1
	s_addc_u32 s15, s13, 0
	s_add_u32 s16, s12, 2
	s_mul_i32 s18, s64, s13
	s_mul_hi_u32 s19, s64, s12
	s_addc_u32 s17, s13, 0
	s_add_i32 s19, s19, s18
	s_mul_i32 s18, s64, s12
	v_mov_b32_e32 v1, s18
	v_sub_co_u32_e32 v1, vcc, s2, v1
	s_cmp_lg_u64 vcc, 0
	s_subb_u32 s2, s3, s19
	v_subrev_co_u32_e32 v4, vcc, s64, v1
	s_cmp_lg_u64 vcc, 0
	s_subb_u32 s3, s2, 0
	v_readfirstlane_b32 s18, v4
	s_cmp_ge_u32 s18, s64
	s_cselect_b32 s18, -1, 0
	s_cmp_eq_u32 s3, 0
	s_cselect_b32 s3, s18, -1
	s_cmp_lg_u32 s3, 0
	s_cselect_b32 s3, s17, s15
	v_readfirstlane_b32 s15, v1
	s_cselect_b32 s14, s16, s14
	s_cmp_ge_u32 s15, s64
	s_cselect_b32 s15, -1, 0
	s_cmp_eq_u32 s2, 0
	s_cselect_b32 s2, s15, -1
	s_cmp_lg_u32 s2, 0
	s_cselect_b32 s3, s3, s13
	s_cselect_b32 s2, s14, s12
	s_xor_b64 s[2:3], s[2:3], s[10:11]
	s_sub_u32 s2, s2, s10
	s_subb_u32 s3, s3, s10
	s_cbranch_execnz .LBB3_5
.LBB3_4:
	v_cvt_f32_u32_e32 v1, s64
	s_sub_i32 s0, 0, s64
	s_mov_b32 s3, 0
	v_rcp_iflag_f32_e32 v1, v1
	v_mul_f32_e32 v1, 0x4f7ffffe, v1
	v_cvt_u32_f32_e32 v1, v1
	v_readfirstlane_b32 s1, v1
	s_mul_i32 s0, s0, s1
	s_mul_hi_u32 s0, s1, s0
	s_add_i32 s1, s1, s0
	s_mul_hi_u32 s0, s9, s1
	s_mul_i32 s2, s0, s64
	s_sub_i32 s2, s9, s2
	s_add_i32 s1, s0, 1
	s_sub_i32 s9, s2, s64
	s_cmp_ge_u32 s2, s64
	s_cselect_b32 s0, s1, s0
	s_cselect_b32 s2, s9, s2
	s_add_i32 s1, s0, 1
	s_cmp_ge_u32 s2, s64
	s_cselect_b32 s2, s1, s0
.LBB3_5:
	v_mov_b32_e32 v1, 0
	v_mov_b32_e32 v4, s6
	v_mad_u64_u32 v[10:11], s[0:1], s8, v4, v[0:1]
	s_add_u32 s0, s2, 1
	s_addc_u32 s1, s3, 0
	s_mul_hi_u32 s2, s7, s8
	s_mul_i32 s1, s33, s1
	s_mul_hi_u32 s3, s33, s0
	s_add_i32 s1, s3, s1
	s_mul_i32 s2, s2, s0
	s_add_i32 s1, s1, s2
	s_mul_i32 s0, s33, s0
	s_lshl_b64 s[34:35], s[0:1], 1
	v_cmp_gt_i64_e32 vcc, s[34:35], v[10:11]
	s_and_saveexec_b64 s[0:1], vcc
	s_cbranch_execz .LBB3_50
; %bb.6:
	s_mov_b32 s0, 0x5384540f
	v_mov_b32_e32 v0, v9
	v_add_co_u32_e32 v20, vcc, s0, v8
	s_mov_b32 s0, 0x646e171e
	v_add_co_u32_e32 v21, vcc, s0, v0
	s_mov_b32 s0, 0x1715609d
	v_add_co_u32_e32 v22, vcc, s0, v8
	s_mov_b32 s0, 0xed9eba14
	v_add_co_u32_e32 v23, vcc, s0, v0
	s_mov_b32 s0, 0xdaa66d2b
	v_add_co_u32_e32 v24, vcc, s0, v8
	s_mov_b32 s0, 0x76cf5d0a
	v_add_co_u32_e32 v25, vcc, s0, v0
	s_mov_b32 s0, 0x9e3779b9
	v_alignbit_b32 v27, v3, v2, 2
	s_mov_b32 s66, 0xd2511f53
	v_add_co_u32_e32 v26, vcc, s0, v8
	v_mad_u64_u32 v[4:5], s[0:1], v27, s66, 0
	v_xor_b32_e32 v1, v5, v9
	v_xor_b32_e32 v1, v1, v11
	s_mov_b32 s67, 0xcd9e8d57
	v_mad_u64_u32 v[6:7], s[0:1], v1, s67, 0
	v_xor_b32_e32 v1, v26, v7
	v_mad_u64_u32 v[12:13], s[0:1], v10, s67, 0
	v_and_b32_e32 v16, 3, v2
	v_xor_b32_e32 v1, v1, v12
	v_xor_b32_e32 v2, v8, v13
	v_lshrrev_b32_e32 v28, 2, v3
	v_mad_u64_u32 v[14:15], s[0:1], v1, s66, 0
	v_xor_b32_e32 v2, v2, v28
	v_xor_b32_e32 v1, v25, v15
	v_mad_u64_u32 v[2:3], s[0:1], v2, s66, 0
	v_xor_b32_e32 v1, v1, v2
	v_mad_u64_u32 v[12:13], s[0:1], v1, s67, 0
	s_mov_b32 s0, 0xbb67ae85
	v_add_co_u32_e32 v29, vcc, s0, v0
	v_xor_b32_e32 v2, v29, v3
	v_xor_b32_e32 v2, v2, v4
	v_xor_b32_e32 v1, v24, v13
	v_mad_u64_u32 v[2:3], s[0:1], v2, s67, 0
	v_xor_b32_e32 v1, v1, v2
	v_mad_u64_u32 v[4:5], s[0:1], v1, s66, 0
	s_mov_b32 s0, 0x3c6ef372
	v_add_co_u32_e32 v30, vcc, s0, v8
	v_xor_b32_e32 v2, v30, v3
	;; [unrolled: 8-line block ×6, first 2 shown]
	v_add_co_u32_e32 v19, vcc, 0xdb3d7428, v0
	v_xor_b32_e32 v2, v2, v6
	v_xor_b32_e32 v1, v19, v5
	v_mad_u64_u32 v[2:3], s[0:1], v2, s66, 0
	v_xor_b32_e32 v1, v1, v2
	v_mad_u64_u32 v[6:7], s[0:1], v1, s67, 0
	s_mov_b32 s0, 0x1fd5c5a3
	v_add_co_u32_e32 v35, vcc, s0, v0
	v_xor_b32_e32 v0, v35, v3
	v_xor_b32_e32 v0, v0, v14
	v_mad_u64_u32 v[0:1], s[0:1], v0, s67, 0
	s_mov_b32 s0, 0xf1bbcdc8
	s_load_dwordx8 s[8:15], s[4:5], 0x30
	v_add_co_u32_e32 v36, vcc, s0, v8
	v_xor_b32_e32 v1, v36, v1
	v_xor_b32_e32 v1, v1, v12
	s_add_u32 s38, s4, 48
	v_mad_u64_u32 v[12:13], s[0:1], v1, s66, 0
	s_addc_u32 s39, s5, 0
	s_waitcnt lgkmcnt(0)
	s_add_i32 s0, s8, -1
	s_cmp_gt_u32 s0, 1
	s_cselect_b64 s[44:45], -1, 0
	s_cmp_lg_u32 s8, 0
	s_cselect_b64 s[46:47], -1, 0
	s_add_u32 s48, s4, 0xf4
	s_addc_u32 s49, s5, 0
	s_min_u32 s1, s0, 15
	s_cmp_gt_u32 s8, 1
	s_cselect_b64 s[52:53], -1, 0
	s_add_i32 s1, s1, 1
	s_load_dwordx2 s[50:51], s[4:5], 0xf4
	s_mov_b32 s8, s13
	s_load_dwordx8 s[16:23], s[4:5], 0x138
	s_and_b32 s13, s1, 3
	s_cmp_lg_u32 s0, 2
	s_cselect_b64 s[54:55], -1, 0
	s_and_b32 s15, s1, 28
	v_add_u32_e32 v17, 0x8ff34781, v8
	v_add_u32_e32 v18, 0x96a522ad, v9
	v_xor_b32_e32 v0, v7, v0
	v_xor_b32_e32 v1, v13, v4
	s_cmp_lg_u32 s13, 0
	s_mov_b32 s65, 0
	v_xor_b32_e32 v0, v17, v0
	v_xor_b32_e32 v2, v18, v1
	v_mov_b32_e32 v1, v6
	v_mov_b32_e32 v3, v12
	s_mov_b64 s[56:57], 0
	s_cselect_b64 s[58:59], -1, 0
	v_mov_b32_e32 v37, v10
	v_mov_b32_e32 v38, v11
	s_branch .LBB3_9
.LBB3_7:                                ;   in Loop: Header=BB3_9 Depth=1
	v_cvt_f32_u32_e32 v2, v1
	v_mov_b32_e32 v3, 0x2f800000
	s_waitcnt lgkmcnt(0)
	v_pk_mov_b32 v[0:1], s[20:21], s[20:21] op_sel:[0,1]
	v_mov_b32_e32 v7, s21
	v_fmac_f32_e32 v3, 0x2f800000, v2
	v_cvt_f64_f32_e32 v[2:3], v3
	v_fma_f64 v[0:1], s[18:19], v[2:3], v[0:1]
	v_cmp_eq_f64_e32 vcc, s[22:23], v[0:1]
	v_mov_b32_e32 v2, s20
	v_cndmask_b32_e32 v1, v1, v7, vcc
	v_cndmask_b32_e32 v0, v0, v2, vcc
	global_store_dwordx2 v14, v[0:1], s[16:17]
.LBB3_8:                                ;   in Loop: Header=BB3_9 Depth=1
	s_or_b64 exec, exec, s[40:41]
	v_add_co_u32_e32 v10, vcc, s64, v10
	v_addc_co_u32_e32 v11, vcc, 0, v11, vcc
	v_mov_b32_e32 v7, v12
	v_cmp_le_i64_e32 vcc, s[34:35], v[10:11]
	v_pk_mov_b32 v[0:1], v[4:5], v[4:5] op_sel:[0,1]
	s_or_b64 s[56:57], vcc, s[56:57]
	v_pk_mov_b32 v[2:3], v[6:7], v[6:7] op_sel:[0,1]
	s_waitcnt lgkmcnt(0)
	s_barrier
	s_andn2_b64 exec, exec, s[56:57]
	s_cbranch_execz .LBB3_50
.LBB3_9:                                ; =>This Loop Header: Depth=1
                                        ;     Child Loop BB3_24 Depth 2
                                        ;     Child Loop BB3_30 Depth 2
	;; [unrolled: 1-line block ×4, first 2 shown]
	v_add_co_u32_e32 v27, vcc, 1, v27
	v_cndmask_b32_e64 v4, 0, 1, vcc
	v_addc_co_u32_e32 v28, vcc, 0, v28, vcc
	v_cmp_eq_u32_e32 vcc, 0, v28
	v_cndmask_b32_e32 v4, 0, v4, vcc
	v_add_u32_e32 v37, v4, v37
	v_cmp_eq_u32_e32 vcc, 0, v37
	v_cndmask_b32_e32 v4, 0, v4, vcc
	v_add_u32_e32 v38, v4, v38
	v_mad_u64_u32 v[4:5], s[0:1], v27, s66, 0
	v_mad_u64_u32 v[6:7], s[0:1], v37, s67, 0
	v_xor_b32_e32 v5, v5, v9
	v_xor_b32_e32 v7, v7, v8
	v_xor_b32_e32 v5, v38, v5
	v_xor_b32_e32 v7, v28, v7
	v_mad_u64_u32 v[14:15], s[0:1], v5, s67, 0
	v_mad_u64_u32 v[12:13], s[0:1], v7, s66, 0
	v_xor_b32_e32 v5, v26, v15
	v_xor_b32_e32 v5, v5, v6
	v_xor_b32_e32 v6, v29, v13
	v_xor_b32_e32 v6, v6, v4
	;; [unrolled: 6-line block ×10, first 2 shown]
	v_mov_b32_e32 v5, v14
	v_cmp_lt_i32_e32 vcc, 1, v16
	s_and_saveexec_b64 s[0:1], vcc
	s_xor_b64 s[0:1], exec, s[0:1]
	s_cbranch_execz .LBB3_15
; %bb.10:                               ;   in Loop: Header=BB3_9 Depth=1
	v_cmp_lt_i32_e32 vcc, 2, v16
	s_and_saveexec_b64 s[2:3], vcc
	s_xor_b64 s[2:3], exec, s[2:3]
; %bb.11:                               ;   in Loop: Header=BB3_9 Depth=1
	v_mov_b32_e32 v0, v3
	v_mov_b32_e32 v1, v4
; %bb.12:                               ;   in Loop: Header=BB3_9 Depth=1
	s_andn2_saveexec_b64 s[2:3], s[2:3]
; %bb.13:                               ;   in Loop: Header=BB3_9 Depth=1
	v_mov_b32_e32 v0, v2
	v_mov_b32_e32 v1, v3
; %bb.14:                               ;   in Loop: Header=BB3_9 Depth=1
	s_or_b64 exec, exec, s[2:3]
.LBB3_15:                               ;   in Loop: Header=BB3_9 Depth=1
	s_andn2_saveexec_b64 s[0:1], s[0:1]
	s_cbranch_execz .LBB3_19
; %bb.16:                               ;   in Loop: Header=BB3_9 Depth=1
	v_cmp_eq_u32_e32 vcc, 1, v16
	s_and_saveexec_b64 s[2:3], vcc
; %bb.17:                               ;   in Loop: Header=BB3_9 Depth=1
	v_mov_b32_e32 v0, v1
	v_mov_b32_e32 v1, v2
; %bb.18:                               ;   in Loop: Header=BB3_9 Depth=1
	s_or_b64 exec, exec, s[2:3]
.LBB3_19:                               ;   in Loop: Header=BB3_9 Depth=1
	s_or_b64 exec, exec, s[0:1]
	v_cndmask_b32_e64 v2, 0, 1, s[44:45]
	v_cmp_gt_i64_e32 vcc, s[36:37], v[10:11]
	v_cmp_ne_u32_e64 s[0:1], 1, v2
	s_and_saveexec_b64 s[2:3], vcc
	s_cbranch_execz .LBB3_35
; %bb.20:                               ;   in Loop: Header=BB3_9 Depth=1
	s_and_b64 vcc, exec, s[0:1]
	s_cbranch_vccnz .LBB3_26
; %bb.21:                               ;   in Loop: Header=BB3_9 Depth=1
	s_andn2_b64 vcc, exec, s[46:47]
	s_cbranch_vccnz .LBB3_27
; %bb.22:                               ;   in Loop: Header=BB3_9 Depth=1
	s_mov_b32 s6, 0
	s_andn2_b64 vcc, exec, s[54:55]
	v_mov_b32_e32 v2, 0
	s_cbranch_vccnz .LBB3_28
; %bb.23:                               ;   in Loop: Header=BB3_9 Depth=1
	s_mov_b32 s68, 0
	v_mov_b32_e32 v2, 0
	s_mov_b64 s[60:61], s[38:39]
	s_mov_b64 s[62:63], s[48:49]
	v_mov_b32_e32 v7, v10
.LBB3_24:                               ;   Parent Loop BB3_9 Depth=1
                                        ; =>  This Inner Loop Header: Depth=2
	s_load_dwordx8 s[24:31], s[60:61], 0x4
	s_load_dwordx4 s[4:7], s[60:61], 0x24
	s_load_dwordx4 s[40:43], s[62:63], 0x0
	s_add_u32 s60, s60, 48
	s_addc_u32 s61, s61, 0
	s_waitcnt lgkmcnt(0)
	v_mul_hi_u32 v3, s25, v7
	v_add_u32_e32 v3, v7, v3
	v_lshrrev_b32_e32 v3, s26, v3
	v_mul_lo_u32 v13, v3, s24
	v_mul_hi_u32 v14, s28, v3
	v_sub_u32_e32 v7, v7, v13
	v_add_u32_e32 v13, v3, v14
	v_lshrrev_b32_e32 v13, s29, v13
	v_mul_lo_u32 v14, v13, s27
	v_mul_hi_u32 v15, s31, v13
	v_sub_u32_e32 v3, v3, v14
	v_add_u32_e32 v14, v13, v15
	v_mul_lo_u32 v7, v7, s40
	v_mul_lo_u32 v3, v3, s41
	v_lshrrev_b32_e32 v14, s4, v14
	v_add3_u32 v2, v7, v2, v3
	v_mul_hi_u32 v7, s6, v14
	v_add_u32_e32 v7, v14, v7
	v_mul_lo_u32 v3, v14, s30
	v_lshrrev_b32_e32 v7, s7, v7
	s_add_i32 s68, s68, 4
	v_sub_u32_e32 v3, v13, v3
	v_mul_lo_u32 v13, v7, s5
	s_add_u32 s62, s62, 16
	v_sub_u32_e32 v13, v14, v13
	s_addc_u32 s63, s63, 0
	v_mul_lo_u32 v3, v3, s42
	v_mul_lo_u32 v13, v13, s43
	s_cmp_lg_u32 s15, s68
	v_add3_u32 v2, v3, v2, v13
	s_cbranch_scc1 .LBB3_24
; %bb.25:                               ;   in Loop: Header=BB3_9 Depth=1
	s_mov_b32 s6, s15
	s_andn2_b64 vcc, exec, s[58:59]
	s_cbranch_vccz .LBB3_29
	s_branch .LBB3_31
.LBB3_26:                               ;   in Loop: Header=BB3_9 Depth=1
                                        ; implicit-def: $vgpr2
	s_branch .LBB3_32
.LBB3_27:                               ;   in Loop: Header=BB3_9 Depth=1
	v_mov_b32_e32 v2, 0
	s_branch .LBB3_31
.LBB3_28:                               ;   in Loop: Header=BB3_9 Depth=1
	v_mov_b32_e32 v7, v10
	s_andn2_b64 vcc, exec, s[58:59]
	s_cbranch_vccnz .LBB3_31
.LBB3_29:                               ;   in Loop: Header=BB3_9 Depth=1
	s_lshl_b32 s4, s6, 2
	s_add_u32 s4, s48, s4
	s_addc_u32 s5, s49, 0
	s_mul_i32 s6, s6, 12
	s_add_u32 s6, s38, s6
	s_addc_u32 s7, s39, 0
	s_mov_b32 s24, s13
.LBB3_30:                               ;   Parent Loop BB3_9 Depth=1
                                        ; =>  This Inner Loop Header: Depth=2
	s_load_dwordx2 s[26:27], s[6:7], 0x4
	s_load_dword s25, s[6:7], 0xc
	s_load_dword s28, s[4:5], 0x0
	s_add_u32 s6, s6, 12
	s_addc_u32 s7, s7, 0
	s_waitcnt lgkmcnt(0)
	v_mul_hi_u32 v3, s27, v7
	v_add_u32_e32 v3, v7, v3
	v_lshrrev_b32_e32 v3, s25, v3
	s_add_u32 s4, s4, 4
	v_mul_lo_u32 v13, v3, s26
	s_addc_u32 s5, s5, 0
	s_add_i32 s24, s24, -1
	v_sub_u32_e32 v13, v7, v13
	s_cmp_lg_u32 s24, 0
	v_mov_b32_e32 v7, v3
	v_mad_u64_u32 v[2:3], s[26:27], v13, s28, v[2:3]
	s_cbranch_scc1 .LBB3_30
.LBB3_31:                               ;   in Loop: Header=BB3_9 Depth=1
	s_cbranch_execnz .LBB3_34
.LBB3_32:                               ;   in Loop: Header=BB3_9 Depth=1
	v_mul_hi_u32 v2, v10, s10
	v_add_u32_e32 v2, v2, v10
	v_lshrrev_b32_e32 v3, s11, v2
	v_mul_lo_u32 v2, v3, s9
	v_sub_u32_e32 v2, v10, v2
	s_andn2_b64 vcc, exec, s[52:53]
	s_waitcnt lgkmcnt(0)
	v_mul_lo_u32 v2, v2, s50
	s_cbranch_vccnz .LBB3_34
; %bb.33:                               ;   in Loop: Header=BB3_9 Depth=1
	v_mul_hi_u32 v7, s8, v3
	v_add_u32_e32 v7, v3, v7
	v_lshrrev_b32_e32 v7, s14, v7
	v_mul_lo_u32 v7, v7, s12
	v_sub_u32_e32 v3, v3, v7
	v_mad_u64_u32 v[2:3], s[4:5], v3, s51, v[2:3]
.LBB3_34:                               ;   in Loop: Header=BB3_9 Depth=1
	v_cvt_f32_u32_e32 v0, v0
	v_mov_b32_e32 v3, 0x2f800000
	s_waitcnt lgkmcnt(0)
	v_pk_mov_b32 v[14:15], s[20:21], s[20:21] op_sel:[0,1]
	v_mov_b32_e32 v7, s21
	v_fmac_f32_e32 v3, 0x2f800000, v0
	v_cvt_f64_f32_e32 v[40:41], v3
	v_fma_f64 v[14:15], s[18:19], v[40:41], v[14:15]
	v_cmp_eq_f64_e32 vcc, s[22:23], v[14:15]
	v_mov_b32_e32 v0, s20
	v_cndmask_b32_e32 v15, v15, v7, vcc
	v_cndmask_b32_e32 v14, v14, v0, vcc
	global_store_dwordx2 v2, v[14:15], s[16:17]
.LBB3_35:                               ;   in Loop: Header=BB3_9 Depth=1
	s_or_b64 exec, exec, s[2:3]
	v_mov_b32_e32 v0, s65
	v_add_co_u32_e32 v2, vcc, s33, v10
	v_addc_co_u32_e32 v3, vcc, v11, v0, vcc
	v_cmp_gt_i64_e32 vcc, s[36:37], v[2:3]
	s_and_saveexec_b64 s[40:41], vcc
	s_cbranch_execz .LBB3_8
; %bb.36:                               ;   in Loop: Header=BB3_9 Depth=1
	s_and_b64 vcc, exec, s[0:1]
	s_cbranch_vccnz .LBB3_42
; %bb.37:                               ;   in Loop: Header=BB3_9 Depth=1
	s_andn2_b64 vcc, exec, s[46:47]
	s_cbranch_vccnz .LBB3_43
; %bb.38:                               ;   in Loop: Header=BB3_9 Depth=1
	s_mov_b32 s2, 0
	s_andn2_b64 vcc, exec, s[54:55]
	v_mov_b32_e32 v14, 0
	s_cbranch_vccnz .LBB3_44
; %bb.39:                               ;   in Loop: Header=BB3_9 Depth=1
	s_mov_b32 s62, 0
	v_mov_b32_e32 v14, 0
	s_mov_b64 s[42:43], s[38:39]
	s_mov_b64 s[60:61], s[48:49]
	v_mov_b32_e32 v0, v2
.LBB3_40:                               ;   Parent Loop BB3_9 Depth=1
                                        ; =>  This Inner Loop Header: Depth=2
	s_load_dwordx8 s[0:7], s[42:43], 0x4
	s_load_dwordx4 s[24:27], s[42:43], 0x24
	s_load_dwordx4 s[28:31], s[60:61], 0x0
	s_add_u32 s42, s42, 48
	s_addc_u32 s43, s43, 0
	s_waitcnt lgkmcnt(0)
	v_mul_hi_u32 v3, s1, v0
	v_add_u32_e32 v3, v0, v3
	v_lshrrev_b32_e32 v3, s2, v3
	v_mul_lo_u32 v7, v3, s0
	v_mul_hi_u32 v13, s4, v3
	v_sub_u32_e32 v0, v0, v7
	v_add_u32_e32 v7, v3, v13
	v_lshrrev_b32_e32 v7, s5, v7
	v_mul_lo_u32 v13, v7, s3
	v_mul_hi_u32 v15, s7, v7
	v_sub_u32_e32 v3, v3, v13
	v_add_u32_e32 v13, v7, v15
	v_mul_lo_u32 v0, v0, s28
	v_mul_lo_u32 v3, v3, s29
	v_lshrrev_b32_e32 v13, s24, v13
	v_add3_u32 v3, v0, v14, v3
	v_mul_lo_u32 v0, v13, s6
	v_mul_hi_u32 v14, s26, v13
	v_sub_u32_e32 v0, v7, v0
	v_add_u32_e32 v7, v13, v14
	v_mul_lo_u32 v14, v0, s30
	v_lshrrev_b32_e32 v0, s27, v7
	s_add_i32 s62, s62, 4
	v_mul_lo_u32 v7, v0, s25
	s_add_u32 s60, s60, 16
	v_sub_u32_e32 v7, v13, v7
	s_addc_u32 s61, s61, 0
	v_mul_lo_u32 v7, v7, s31
	s_cmp_eq_u32 s15, s62
	v_add3_u32 v14, v14, v3, v7
	s_cbranch_scc0 .LBB3_40
; %bb.41:                               ;   in Loop: Header=BB3_9 Depth=1
	s_mov_b32 s2, s15
	s_andn2_b64 vcc, exec, s[58:59]
	s_cbranch_vccz .LBB3_45
	s_branch .LBB3_47
.LBB3_42:                               ;   in Loop: Header=BB3_9 Depth=1
                                        ; implicit-def: $vgpr14
	s_branch .LBB3_48
.LBB3_43:                               ;   in Loop: Header=BB3_9 Depth=1
	v_mov_b32_e32 v14, 0
	s_branch .LBB3_47
.LBB3_44:                               ;   in Loop: Header=BB3_9 Depth=1
	v_mov_b32_e32 v0, v2
	s_andn2_b64 vcc, exec, s[58:59]
	s_cbranch_vccnz .LBB3_47
.LBB3_45:                               ;   in Loop: Header=BB3_9 Depth=1
	s_lshl_b32 s0, s2, 2
	s_add_u32 s0, s48, s0
	s_addc_u32 s1, s49, 0
	s_mul_i32 s2, s2, 12
	s_add_u32 s2, s38, s2
	s_addc_u32 s3, s39, 0
	s_mov_b32 s4, s13
.LBB3_46:                               ;   Parent Loop BB3_9 Depth=1
                                        ; =>  This Inner Loop Header: Depth=2
	s_load_dwordx2 s[6:7], s[2:3], 0x4
	s_load_dword s5, s[2:3], 0xc
	s_load_dword s24, s[0:1], 0x0
	s_add_u32 s2, s2, 12
	s_addc_u32 s3, s3, 0
	s_waitcnt lgkmcnt(0)
	v_mul_hi_u32 v3, s7, v0
	v_add_u32_e32 v3, v0, v3
	v_lshrrev_b32_e32 v3, s5, v3
	s_add_u32 s0, s0, 4
	v_mul_lo_u32 v7, v3, s6
	s_addc_u32 s1, s1, 0
	s_add_i32 s4, s4, -1
	v_sub_u32_e32 v7, v0, v7
	s_cmp_lg_u32 s4, 0
	v_mov_b32_e32 v0, v3
	v_mad_u64_u32 v[14:15], s[6:7], v7, s24, v[14:15]
	s_cbranch_scc1 .LBB3_46
.LBB3_47:                               ;   in Loop: Header=BB3_9 Depth=1
	s_cbranch_execnz .LBB3_7
.LBB3_48:                               ;   in Loop: Header=BB3_9 Depth=1
	v_mul_hi_u32 v0, v2, s10
	v_add_u32_e32 v0, v0, v2
	v_lshrrev_b32_e32 v0, s11, v0
	v_mul_lo_u32 v3, v0, s9
	v_sub_u32_e32 v2, v2, v3
	s_andn2_b64 vcc, exec, s[52:53]
	s_waitcnt lgkmcnt(0)
	v_mul_lo_u32 v14, v2, s50
	s_cbranch_vccnz .LBB3_7
; %bb.49:                               ;   in Loop: Header=BB3_9 Depth=1
	v_mul_hi_u32 v2, s8, v0
	v_add_u32_e32 v2, v0, v2
	v_lshrrev_b32_e32 v2, s14, v2
	v_mul_lo_u32 v2, v2, s12
	v_sub_u32_e32 v0, v0, v2
	v_mad_u64_u32 v[14:15], s[0:1], v0, s51, v[14:15]
	s_branch .LBB3_7
.LBB3_50:
	s_endpgm
.LBB3_51:
                                        ; implicit-def: $sgpr2_sgpr3
	s_andn2_b64 vcc, exec, s[0:1]
	s_cbranch_vccz .LBB3_4
	s_branch .LBB3_5
	.section	.rodata,"a",@progbits
	.p2align	6, 0x0
	.amdhsa_kernel _ZN2at6native12_GLOBAL__N_143distribution_elementwise_grid_stride_kernelIdLi2EZNS0_9templates4cuda21uniform_and_transformIddPNS_17CUDAGeneratorImplEZZZNS4_14uniform_kernelIS7_EEvRNS_18TensorIteratorBaseEddT_ENKUlvE_clEvENKUlvE_clEvEUldE_EEvSA_T1_T2_EUlP25hiprandStatePhilox4_32_10E0_ZNS1_27distribution_nullary_kernelIdd15HIP_vector_typeIfLj4EES7_SJ_SE_EEvSA_SG_RKT3_T4_EUlidE0_EEvlNS_15PhiloxCudaStateESF_SG_
		.amdhsa_group_segment_fixed_size 0
		.amdhsa_private_segment_fixed_size 0
		.amdhsa_kernarg_size 600
		.amdhsa_user_sgpr_count 6
		.amdhsa_user_sgpr_private_segment_buffer 1
		.amdhsa_user_sgpr_dispatch_ptr 0
		.amdhsa_user_sgpr_queue_ptr 0
		.amdhsa_user_sgpr_kernarg_segment_ptr 1
		.amdhsa_user_sgpr_dispatch_id 0
		.amdhsa_user_sgpr_flat_scratch_init 0
		.amdhsa_user_sgpr_kernarg_preload_length 0
		.amdhsa_user_sgpr_kernarg_preload_offset 0
		.amdhsa_user_sgpr_private_segment_size 0
		.amdhsa_uses_dynamic_stack 0
		.amdhsa_system_sgpr_private_segment_wavefront_offset 0
		.amdhsa_system_sgpr_workgroup_id_x 1
		.amdhsa_system_sgpr_workgroup_id_y 0
		.amdhsa_system_sgpr_workgroup_id_z 0
		.amdhsa_system_sgpr_workgroup_info 0
		.amdhsa_system_vgpr_workitem_id 0
		.amdhsa_next_free_vgpr 42
		.amdhsa_next_free_sgpr 69
		.amdhsa_accum_offset 44
		.amdhsa_reserve_vcc 1
		.amdhsa_reserve_flat_scratch 0
		.amdhsa_float_round_mode_32 0
		.amdhsa_float_round_mode_16_64 0
		.amdhsa_float_denorm_mode_32 3
		.amdhsa_float_denorm_mode_16_64 3
		.amdhsa_dx10_clamp 1
		.amdhsa_ieee_mode 1
		.amdhsa_fp16_overflow 0
		.amdhsa_tg_split 0
		.amdhsa_exception_fp_ieee_invalid_op 0
		.amdhsa_exception_fp_denorm_src 0
		.amdhsa_exception_fp_ieee_div_zero 0
		.amdhsa_exception_fp_ieee_overflow 0
		.amdhsa_exception_fp_ieee_underflow 0
		.amdhsa_exception_fp_ieee_inexact 0
		.amdhsa_exception_int_div_zero 0
	.end_amdhsa_kernel
	.section	.text._ZN2at6native12_GLOBAL__N_143distribution_elementwise_grid_stride_kernelIdLi2EZNS0_9templates4cuda21uniform_and_transformIddPNS_17CUDAGeneratorImplEZZZNS4_14uniform_kernelIS7_EEvRNS_18TensorIteratorBaseEddT_ENKUlvE_clEvENKUlvE_clEvEUldE_EEvSA_T1_T2_EUlP25hiprandStatePhilox4_32_10E0_ZNS1_27distribution_nullary_kernelIdd15HIP_vector_typeIfLj4EES7_SJ_SE_EEvSA_SG_RKT3_T4_EUlidE0_EEvlNS_15PhiloxCudaStateESF_SG_,"axG",@progbits,_ZN2at6native12_GLOBAL__N_143distribution_elementwise_grid_stride_kernelIdLi2EZNS0_9templates4cuda21uniform_and_transformIddPNS_17CUDAGeneratorImplEZZZNS4_14uniform_kernelIS7_EEvRNS_18TensorIteratorBaseEddT_ENKUlvE_clEvENKUlvE_clEvEUldE_EEvSA_T1_T2_EUlP25hiprandStatePhilox4_32_10E0_ZNS1_27distribution_nullary_kernelIdd15HIP_vector_typeIfLj4EES7_SJ_SE_EEvSA_SG_RKT3_T4_EUlidE0_EEvlNS_15PhiloxCudaStateESF_SG_,comdat
.Lfunc_end3:
	.size	_ZN2at6native12_GLOBAL__N_143distribution_elementwise_grid_stride_kernelIdLi2EZNS0_9templates4cuda21uniform_and_transformIddPNS_17CUDAGeneratorImplEZZZNS4_14uniform_kernelIS7_EEvRNS_18TensorIteratorBaseEddT_ENKUlvE_clEvENKUlvE_clEvEUldE_EEvSA_T1_T2_EUlP25hiprandStatePhilox4_32_10E0_ZNS1_27distribution_nullary_kernelIdd15HIP_vector_typeIfLj4EES7_SJ_SE_EEvSA_SG_RKT3_T4_EUlidE0_EEvlNS_15PhiloxCudaStateESF_SG_, .Lfunc_end3-_ZN2at6native12_GLOBAL__N_143distribution_elementwise_grid_stride_kernelIdLi2EZNS0_9templates4cuda21uniform_and_transformIddPNS_17CUDAGeneratorImplEZZZNS4_14uniform_kernelIS7_EEvRNS_18TensorIteratorBaseEddT_ENKUlvE_clEvENKUlvE_clEvEUldE_EEvSA_T1_T2_EUlP25hiprandStatePhilox4_32_10E0_ZNS1_27distribution_nullary_kernelIdd15HIP_vector_typeIfLj4EES7_SJ_SE_EEvSA_SG_RKT3_T4_EUlidE0_EEvlNS_15PhiloxCudaStateESF_SG_
                                        ; -- End function
	.section	.AMDGPU.csdata,"",@progbits
; Kernel info:
; codeLenInByte = 3280
; NumSgprs: 73
; NumVgprs: 42
; NumAgprs: 0
; TotalNumVgprs: 42
; ScratchSize: 0
; MemoryBound: 0
; FloatMode: 240
; IeeeMode: 1
; LDSByteSize: 0 bytes/workgroup (compile time only)
; SGPRBlocks: 9
; VGPRBlocks: 5
; NumSGPRsForWavesPerEU: 73
; NumVGPRsForWavesPerEU: 42
; AccumOffset: 44
; Occupancy: 8
; WaveLimiterHint : 1
; COMPUTE_PGM_RSRC2:SCRATCH_EN: 0
; COMPUTE_PGM_RSRC2:USER_SGPR: 6
; COMPUTE_PGM_RSRC2:TRAP_HANDLER: 0
; COMPUTE_PGM_RSRC2:TGID_X_EN: 1
; COMPUTE_PGM_RSRC2:TGID_Y_EN: 0
; COMPUTE_PGM_RSRC2:TGID_Z_EN: 0
; COMPUTE_PGM_RSRC2:TIDIG_COMP_CNT: 0
; COMPUTE_PGM_RSRC3_GFX90A:ACCUM_OFFSET: 10
; COMPUTE_PGM_RSRC3_GFX90A:TG_SPLIT: 0
	.section	.text._ZN2at6native12_GLOBAL__N_143distribution_elementwise_grid_stride_kernelIfLi4EZNS0_9templates4cuda21uniform_and_transformIffPNS_17CUDAGeneratorImplEZZZNS4_14uniform_kernelIS7_EEvRNS_18TensorIteratorBaseEddT_ENKUlvE_clEvENKUlvE0_clEvEUlfE_EEvSA_T1_T2_EUlP25hiprandStatePhilox4_32_10E_ZNS1_27distribution_nullary_kernelIff15HIP_vector_typeIdLj2EES7_SJ_SE_EEvSA_SG_RKT3_T4_EUlifE_EEvlNS_15PhiloxCudaStateESF_SG_,"axG",@progbits,_ZN2at6native12_GLOBAL__N_143distribution_elementwise_grid_stride_kernelIfLi4EZNS0_9templates4cuda21uniform_and_transformIffPNS_17CUDAGeneratorImplEZZZNS4_14uniform_kernelIS7_EEvRNS_18TensorIteratorBaseEddT_ENKUlvE_clEvENKUlvE0_clEvEUlfE_EEvSA_T1_T2_EUlP25hiprandStatePhilox4_32_10E_ZNS1_27distribution_nullary_kernelIff15HIP_vector_typeIdLj2EES7_SJ_SE_EEvSA_SG_RKT3_T4_EUlifE_EEvlNS_15PhiloxCudaStateESF_SG_,comdat
	.globl	_ZN2at6native12_GLOBAL__N_143distribution_elementwise_grid_stride_kernelIfLi4EZNS0_9templates4cuda21uniform_and_transformIffPNS_17CUDAGeneratorImplEZZZNS4_14uniform_kernelIS7_EEvRNS_18TensorIteratorBaseEddT_ENKUlvE_clEvENKUlvE0_clEvEUlfE_EEvSA_T1_T2_EUlP25hiprandStatePhilox4_32_10E_ZNS1_27distribution_nullary_kernelIff15HIP_vector_typeIdLj2EES7_SJ_SE_EEvSA_SG_RKT3_T4_EUlifE_EEvlNS_15PhiloxCudaStateESF_SG_ ; -- Begin function _ZN2at6native12_GLOBAL__N_143distribution_elementwise_grid_stride_kernelIfLi4EZNS0_9templates4cuda21uniform_and_transformIffPNS_17CUDAGeneratorImplEZZZNS4_14uniform_kernelIS7_EEvRNS_18TensorIteratorBaseEddT_ENKUlvE_clEvENKUlvE0_clEvEUlfE_EEvSA_T1_T2_EUlP25hiprandStatePhilox4_32_10E_ZNS1_27distribution_nullary_kernelIff15HIP_vector_typeIdLj2EES7_SJ_SE_EEvSA_SG_RKT3_T4_EUlifE_EEvlNS_15PhiloxCudaStateESF_SG_
	.p2align	8
	.type	_ZN2at6native12_GLOBAL__N_143distribution_elementwise_grid_stride_kernelIfLi4EZNS0_9templates4cuda21uniform_and_transformIffPNS_17CUDAGeneratorImplEZZZNS4_14uniform_kernelIS7_EEvRNS_18TensorIteratorBaseEddT_ENKUlvE_clEvENKUlvE0_clEvEUlfE_EEvSA_T1_T2_EUlP25hiprandStatePhilox4_32_10E_ZNS1_27distribution_nullary_kernelIff15HIP_vector_typeIdLj2EES7_SJ_SE_EEvSA_SG_RKT3_T4_EUlifE_EEvlNS_15PhiloxCudaStateESF_SG_,@function
_ZN2at6native12_GLOBAL__N_143distribution_elementwise_grid_stride_kernelIfLi4EZNS0_9templates4cuda21uniform_and_transformIffPNS_17CUDAGeneratorImplEZZZNS4_14uniform_kernelIS7_EEvRNS_18TensorIteratorBaseEddT_ENKUlvE_clEvENKUlvE0_clEvEUlfE_EEvSA_T1_T2_EUlP25hiprandStatePhilox4_32_10E_ZNS1_27distribution_nullary_kernelIff15HIP_vector_typeIdLj2EES7_SJ_SE_EEvSA_SG_RKT3_T4_EUlifE_EEvlNS_15PhiloxCudaStateESF_SG_: ; @_ZN2at6native12_GLOBAL__N_143distribution_elementwise_grid_stride_kernelIfLi4EZNS0_9templates4cuda21uniform_and_transformIffPNS_17CUDAGeneratorImplEZZZNS4_14uniform_kernelIS7_EEvRNS_18TensorIteratorBaseEddT_ENKUlvE_clEvENKUlvE0_clEvEUlfE_EEvSA_T1_T2_EUlP25hiprandStatePhilox4_32_10E_ZNS1_27distribution_nullary_kernelIff15HIP_vector_typeIdLj2EES7_SJ_SE_EEvSA_SG_RKT3_T4_EUlifE_EEvlNS_15PhiloxCudaStateESF_SG_
; %bb.0:
	s_load_dword s7, s[4:5], 0x20
	s_load_dwordx2 s[10:11], s[4:5], 0x10
	s_load_dwordx4 s[0:3], s[4:5], 0x0
	s_mov_b32 s8, 0
	s_waitcnt lgkmcnt(0)
	s_bitcmp0_b32 s7, 0
	v_pk_mov_b32 v[2:3], s[10:11], s[10:11] op_sel:[0,1]
	v_pk_mov_b32 v[14:15], s[2:3], s[2:3] op_sel:[0,1]
	s_cbranch_scc1 .LBB4_2
; %bb.1:
	v_pk_mov_b32 v[2:3], s[10:11], s[10:11] op_sel:[0,1]
	flat_load_dwordx2 v[2:3], v[2:3]
	v_pk_mov_b32 v[4:5], s[2:3], s[2:3] op_sel:[0,1]
	flat_load_dwordx2 v[14:15], v[4:5]
	s_load_dwordx2 s[2:3], s[4:5], 0x18
	s_waitcnt lgkmcnt(0)
	v_mov_b32_e32 v1, s3
	s_waitcnt vmcnt(0)
	v_add_co_u32_e32 v2, vcc, s2, v2
	v_addc_co_u32_e32 v3, vcc, v3, v1, vcc
.LBB4_2:
	s_load_dword s2, s[4:5], 0x54
	s_load_dword s14, s[4:5], 0x48
	s_waitcnt lgkmcnt(0)
	s_and_b32 s7, s2, 0xffff
	s_add_u32 s10, s0, -1
	s_mul_i32 s16, s14, s7
	s_addc_u32 s9, s1, -1
	s_lshl_b32 s17, s16, 2
	s_cmp_lg_u64 s[8:9], 0
	s_mov_b64 s[2:3], -1
	s_cbranch_scc0 .LBB4_23
; %bb.3:
	v_cvt_f32_u32_e32 v1, s17
	v_cvt_f32_ubyte0_e32 v4, 0
	s_sub_u32 s8, 0, s17
	s_subb_u32 s11, 0, 0
	v_madmk_f32 v1, v4, 0x4f800000, v1
	v_rcp_f32_e32 v1, v1
	v_mul_f32_e32 v1, 0x5f7ffffc, v1
	v_mul_f32_e32 v4, 0x2f800000, v1
	v_trunc_f32_e32 v4, v4
	v_madmk_f32 v1, v4, 0xcf800000, v1
	v_cvt_u32_f32_e32 v4, v4
	v_cvt_u32_f32_e32 v1, v1
	v_readfirstlane_b32 s12, v4
	v_readfirstlane_b32 s13, v1
	s_mul_i32 s15, s8, s12
	s_mul_hi_u32 s19, s8, s13
	s_mul_i32 s18, s11, s13
	s_add_i32 s15, s19, s15
	s_add_i32 s15, s15, s18
	s_mul_i32 s20, s8, s13
	s_mul_hi_u32 s18, s13, s15
	s_mul_i32 s19, s13, s15
	s_mul_hi_u32 s13, s13, s20
	s_add_u32 s13, s13, s19
	s_addc_u32 s18, 0, s18
	s_mul_hi_u32 s21, s12, s20
	s_mul_i32 s20, s12, s20
	s_add_u32 s13, s13, s20
	s_mul_hi_u32 s19, s12, s15
	s_addc_u32 s13, s18, s21
	s_addc_u32 s18, s19, 0
	s_mul_i32 s15, s12, s15
	s_add_u32 s13, s13, s15
	s_addc_u32 s15, 0, s18
	v_add_co_u32_e32 v1, vcc, s13, v1
	s_cmp_lg_u64 vcc, 0
	s_addc_u32 s12, s12, s15
	v_readfirstlane_b32 s15, v1
	s_mul_i32 s13, s8, s12
	s_mul_hi_u32 s18, s8, s15
	s_add_i32 s13, s18, s13
	s_mul_i32 s11, s11, s15
	s_add_i32 s13, s13, s11
	s_mul_i32 s8, s8, s15
	s_mul_hi_u32 s18, s12, s8
	s_mul_i32 s19, s12, s8
	s_mul_i32 s21, s15, s13
	s_mul_hi_u32 s8, s15, s8
	s_mul_hi_u32 s20, s15, s13
	s_add_u32 s8, s8, s21
	s_addc_u32 s15, 0, s20
	s_add_u32 s8, s8, s19
	s_mul_hi_u32 s11, s12, s13
	s_addc_u32 s8, s15, s18
	s_addc_u32 s11, s11, 0
	s_mul_i32 s13, s12, s13
	s_add_u32 s8, s8, s13
	s_addc_u32 s11, 0, s11
	v_add_co_u32_e32 v1, vcc, s8, v1
	s_cmp_lg_u64 vcc, 0
	s_addc_u32 s11, s12, s11
	s_ashr_i32 s12, s9, 31
	s_add_u32 s8, s10, s12
	s_mov_b32 s13, s12
	s_addc_u32 s9, s9, s12
	s_xor_b64 s[8:9], s[8:9], s[12:13]
	v_readfirstlane_b32 s19, v1
	s_mul_i32 s18, s8, s11
	s_mul_hi_u32 s20, s8, s19
	s_mul_hi_u32 s15, s8, s11
	s_add_u32 s18, s20, s18
	s_addc_u32 s15, 0, s15
	s_mul_hi_u32 s21, s9, s19
	s_mul_i32 s19, s9, s19
	s_add_u32 s18, s18, s19
	s_mul_hi_u32 s20, s9, s11
	s_addc_u32 s15, s15, s21
	s_addc_u32 s18, s20, 0
	s_mul_i32 s11, s9, s11
	s_add_u32 s11, s15, s11
	s_addc_u32 s15, 0, s18
	s_add_u32 s18, s11, 1
	s_addc_u32 s19, s15, 0
	s_add_u32 s20, s11, 2
	s_mul_i32 s22, s17, s15
	s_mul_hi_u32 s23, s17, s11
	s_addc_u32 s21, s15, 0
	s_add_i32 s23, s23, s22
	s_mul_i32 s22, s17, s11
	v_mov_b32_e32 v1, s22
	v_sub_co_u32_e32 v1, vcc, s8, v1
	s_cmp_lg_u64 vcc, 0
	s_subb_u32 s8, s9, s23
	v_subrev_co_u32_e32 v4, vcc, s17, v1
	s_cmp_lg_u64 vcc, 0
	s_subb_u32 s9, s8, 0
	v_readfirstlane_b32 s22, v4
	s_cmp_ge_u32 s22, s17
	s_cselect_b32 s22, -1, 0
	s_cmp_eq_u32 s9, 0
	s_cselect_b32 s9, s22, -1
	s_cmp_lg_u32 s9, 0
	s_cselect_b32 s9, s21, s19
	v_readfirstlane_b32 s19, v1
	s_cselect_b32 s18, s20, s18
	s_cmp_ge_u32 s19, s17
	s_cselect_b32 s19, -1, 0
	s_cmp_eq_u32 s8, 0
	s_cselect_b32 s8, s19, -1
	s_cmp_lg_u32 s8, 0
	s_cselect_b32 s9, s9, s15
	s_cselect_b32 s8, s18, s11
	s_xor_b64 s[8:9], s[8:9], s[12:13]
	s_sub_u32 s8, s8, s12
	s_subb_u32 s9, s9, s12
	s_cbranch_execnz .LBB4_5
.LBB4_4:
	v_cvt_f32_u32_e32 v1, s17
	s_sub_i32 s2, 0, s17
	s_mov_b32 s9, 0
	v_rcp_iflag_f32_e32 v1, v1
	v_mul_f32_e32 v1, 0x4f7ffffe, v1
	v_cvt_u32_f32_e32 v1, v1
	v_readfirstlane_b32 s3, v1
	s_mul_i32 s2, s2, s3
	s_mul_hi_u32 s2, s3, s2
	s_add_i32 s3, s3, s2
	s_mul_hi_u32 s2, s10, s3
	s_mul_i32 s8, s2, s17
	s_sub_i32 s8, s10, s8
	s_add_i32 s3, s2, 1
	s_sub_i32 s10, s8, s17
	s_cmp_ge_u32 s8, s17
	s_cselect_b32 s2, s3, s2
	s_cselect_b32 s8, s10, s8
	s_add_i32 s3, s2, 1
	s_cmp_ge_u32 s8, s17
	s_cselect_b32 s8, s3, s2
.LBB4_5:
	v_mov_b32_e32 v1, 0
	v_mov_b32_e32 v4, s6
	v_mad_u64_u32 v[16:17], s[2:3], s7, v4, v[0:1]
	s_add_u32 s2, s8, 1
	s_addc_u32 s3, s9, 0
	s_mul_hi_u32 s8, s14, s7
	s_mul_i32 s3, s16, s3
	s_mul_hi_u32 s9, s16, s2
	s_add_i32 s3, s9, s3
	s_mul_i32 s8, s8, s2
	s_add_i32 s3, s3, s8
	s_mul_i32 s2, s16, s2
	s_lshl_b64 s[2:3], s[2:3], 2
	v_cmp_gt_i64_e32 vcc, s[2:3], v[16:17]
	s_and_saveexec_b64 s[8:9], vcc
	s_cbranch_execz .LBB4_22
; %bb.6:
	s_load_dwordx2 s[12:13], s[4:5], 0x30
	s_load_dwordx4 s[8:11], s[4:5], 0x38
	s_mov_b32 s4, 0x5384540f
	v_mov_b32_e32 v4, v15
	v_add_co_u32_e32 v22, vcc, s4, v14
	s_mov_b32 s4, 0x646e171e
	v_add_co_u32_e32 v23, vcc, s4, v4
	s_mov_b32 s4, 0x1715609d
	;; [unrolled: 2-line block ×6, first 2 shown]
	v_alignbit_b32 v29, v3, v2, 2
	s_mov_b32 s19, 0xd2511f53
	v_add_co_u32_e32 v28, vcc, s4, v14
	v_mad_u64_u32 v[6:7], s[4:5], v29, s19, 0
	v_xor_b32_e32 v1, v7, v15
	v_xor_b32_e32 v1, v1, v17
	s_mov_b32 s20, 0xcd9e8d57
	v_mad_u64_u32 v[8:9], s[4:5], v1, s20, 0
	v_xor_b32_e32 v1, v28, v9
	v_mad_u64_u32 v[10:11], s[4:5], v16, s20, 0
	v_and_b32_e32 v18, 3, v2
	v_xor_b32_e32 v1, v1, v10
	v_xor_b32_e32 v2, v14, v11
	v_lshrrev_b32_e32 v30, 2, v3
	v_mad_u64_u32 v[12:13], s[4:5], v1, s19, 0
	v_xor_b32_e32 v2, v2, v30
	v_xor_b32_e32 v1, v27, v13
	v_mad_u64_u32 v[2:3], s[4:5], v2, s19, 0
	v_xor_b32_e32 v1, v1, v2
	v_mad_u64_u32 v[10:11], s[4:5], v1, s20, 0
	s_mov_b32 s4, 0xbb67ae85
	v_add_co_u32_e32 v31, vcc, s4, v4
	v_xor_b32_e32 v2, v31, v3
	v_xor_b32_e32 v2, v2, v6
	v_xor_b32_e32 v1, v26, v11
	v_mad_u64_u32 v[2:3], s[4:5], v2, s20, 0
	v_xor_b32_e32 v1, v1, v2
	v_mad_u64_u32 v[6:7], s[4:5], v1, s19, 0
	s_mov_b32 s4, 0x3c6ef372
	v_add_co_u32_e32 v32, vcc, s4, v14
	v_xor_b32_e32 v2, v32, v3
	v_xor_b32_e32 v2, v2, v8
	v_xor_b32_e32 v1, v25, v7
	v_mad_u64_u32 v[2:3], s[4:5], v2, s19, 0
	v_xor_b32_e32 v1, v1, v2
	v_mad_u64_u32 v[8:9], s[4:5], v1, s20, 0
	s_mov_b32 s4, 0x32370b8f
	v_add_co_u32_e32 v33, vcc, s4, v4
	v_xor_b32_e32 v2, v33, v3
	v_xor_b32_e32 v2, v2, v12
	v_xor_b32_e32 v1, v24, v9
	v_mad_u64_u32 v[2:3], s[4:5], v2, s20, 0
	v_xor_b32_e32 v1, v1, v2
	v_mad_u64_u32 v[12:13], s[4:5], v1, s19, 0
	s_mov_b32 s4, 0x78dde6e4
	v_add_co_u32_e32 v34, vcc, s4, v14
	v_xor_b32_e32 v2, v34, v3
	v_xor_b32_e32 v2, v2, v10
	v_xor_b32_e32 v1, v23, v13
	v_mad_u64_u32 v[2:3], s[4:5], v2, s19, 0
	v_xor_b32_e32 v1, v1, v2
	v_mad_u64_u32 v[10:11], s[4:5], v1, s20, 0
	s_mov_b32 s4, 0xa9066899
	v_add_co_u32_e32 v35, vcc, s4, v4
	v_xor_b32_e32 v2, v35, v3
	v_xor_b32_e32 v2, v2, v6
	v_xor_b32_e32 v1, v22, v11
	v_mad_u64_u32 v[2:3], s[4:5], v2, s20, 0
	v_xor_b32_e32 v1, v1, v2
	v_mad_u64_u32 v[6:7], s[4:5], v1, s19, 0
	s_mov_b32 s4, 0xb54cda56
	v_add_co_u32_e32 v36, vcc, s4, v14
	v_xor_b32_e32 v2, v36, v3
	v_add_co_u32_e32 v21, vcc, 0xdb3d7428, v4
	v_xor_b32_e32 v2, v2, v8
	v_xor_b32_e32 v1, v21, v7
	v_mad_u64_u32 v[2:3], s[4:5], v2, s19, 0
	v_xor_b32_e32 v1, v1, v2
	v_mad_u64_u32 v[8:9], s[4:5], v1, s20, 0
	s_mov_b32 s4, 0x1fd5c5a3
	v_add_co_u32_e32 v37, vcc, s4, v4
	v_xor_b32_e32 v1, v37, v3
	v_xor_b32_e32 v1, v1, v12
	v_mad_u64_u32 v[2:3], s[4:5], v1, s20, 0
	s_mov_b32 s4, 0xf1bbcdc8
	v_add_u32_e32 v19, 0x8ff34781, v14
	v_xor_b32_e32 v1, v9, v2
	v_add_co_u32_e32 v38, vcc, s4, v14
	v_xor_b32_e32 v2, v19, v1
	v_xor_b32_e32 v1, v38, v3
	;; [unrolled: 1-line block ×3, first 2 shown]
	v_mad_u64_u32 v[10:11], s[4:5], v1, s19, 0
	v_add_u32_e32 v20, 0x96a522ad, v15
	v_xor_b32_e32 v1, v11, v6
	s_mul_i32 s4, s6, s7
	v_xor_b32_e32 v4, v20, v1
	v_add_u32_e32 v1, s4, v0
	s_waitcnt lgkmcnt(0)
	s_mul_i32 s4, s14, s8
	s_mul_i32 s4, s4, s7
	s_lshl_b32 s21, s4, 2
	s_add_i32 s4, s6, s14
	s_mul_i32 s4, s4, s7
	s_mov_b32 s18, 0
	v_add_u32_e32 v0, s4, v0
	v_mov_b32_e32 v3, v8
	v_mov_b32_e32 v5, v10
	v_mul_lo_u32 v39, s8, v1
	v_mul_lo_u32 v40, s8, v0
	s_mov_b64 s[4:5], 0
	s_mov_b32 s8, s18
	v_mov_b32_e32 v41, v16
	v_mov_b32_e32 v42, v17
	s_branch .LBB4_8
.LBB4_7:                                ;   in Loop: Header=BB4_8 Depth=1
	s_or_b64 exec, exec, s[6:7]
	v_add_co_u32_e32 v16, vcc, s17, v16
	v_addc_co_u32_e32 v17, vcc, 0, v17, vcc
	v_mov_b32_e32 v9, v0
	s_add_i32 s8, s8, s21
	v_cmp_le_i64_e32 vcc, s[2:3], v[16:17]
	v_pk_mov_b32 v[2:3], v[6:7], v[6:7] op_sel:[0,1]
	s_or_b64 s[4:5], vcc, s[4:5]
	v_pk_mov_b32 v[4:5], v[8:9], v[8:9] op_sel:[0,1]
	s_barrier
	s_andn2_b64 exec, exec, s[4:5]
	s_cbranch_execz .LBB4_22
.LBB4_8:                                ; =>This Inner Loop Header: Depth=1
	v_add_co_u32_e32 v29, vcc, 1, v29
	v_cndmask_b32_e64 v0, 0, 1, vcc
	v_addc_co_u32_e32 v30, vcc, 0, v30, vcc
	v_cmp_eq_u32_e32 vcc, 0, v30
	v_cndmask_b32_e32 v0, 0, v0, vcc
	v_add_u32_e32 v41, v0, v41
	v_cmp_eq_u32_e32 vcc, 0, v41
	v_cndmask_b32_e32 v0, 0, v0, vcc
	v_add_u32_e32 v42, v0, v42
	v_mad_u64_u32 v[0:1], s[6:7], v29, s19, 0
	v_mad_u64_u32 v[6:7], s[6:7], v41, s20, 0
	v_xor_b32_e32 v1, v1, v15
	v_xor_b32_e32 v7, v7, v14
	v_xor_b32_e32 v1, v42, v1
	v_xor_b32_e32 v7, v30, v7
	v_mad_u64_u32 v[10:11], s[6:7], v1, s20, 0
	v_mad_u64_u32 v[8:9], s[6:7], v7, s19, 0
	v_xor_b32_e32 v1, v28, v11
	v_xor_b32_e32 v1, v1, v6
	v_xor_b32_e32 v6, v31, v9
	v_xor_b32_e32 v6, v6, v0
	;; [unrolled: 6-line block ×10, first 2 shown]
	v_mov_b32_e32 v7, v12
	v_mov_b32_e32 v8, v13
	v_cmp_lt_i32_e32 vcc, 1, v18
	s_and_saveexec_b64 s[6:7], vcc
	s_xor_b64 s[6:7], exec, s[6:7]
	s_cbranch_execnz .LBB4_14
; %bb.9:                                ;   in Loop: Header=BB4_8 Depth=1
	s_andn2_saveexec_b64 s[6:7], s[6:7]
	s_cbranch_execnz .LBB4_19
.LBB4_10:                               ;   in Loop: Header=BB4_8 Depth=1
	s_or_b64 exec, exec, s[6:7]
	v_cmp_gt_i64_e32 vcc, s[0:1], v[16:17]
	s_and_saveexec_b64 s[6:7], vcc
	s_cbranch_execz .LBB4_12
.LBB4_11:                               ;   in Loop: Header=BB4_8 Depth=1
	v_lshrrev_b32_e32 v1, 11, v3
	v_cvt_f64_u32_e32 v[10:11], v1
	v_ldexp_f64 v[10:11], v[10:11], 32
	v_cvt_f64_u32_e32 v[2:3], v2
	v_add_f64 v[2:3], v[10:11], v[2:3]
	v_mov_b32_e32 v10, 0
	v_mov_b32_e32 v11, 0x3ca00000
	v_fmac_f64_e32 v[10:11], 0x3ca00000, v[2:3]
	v_add_u32_e32 v2, s8, v39
	v_ashrrev_i32_e32 v3, 31, v2
	v_mov_b32_e32 v9, s13
	v_add_co_u32_e32 v2, vcc, s12, v2
	v_cvt_f32_f64_e32 v1, v[10:11]
	v_addc_co_u32_e32 v3, vcc, v9, v3, vcc
	v_mov_b32_e32 v9, s10
	v_fma_f32 v1, s9, v1, v9
	v_cmp_eq_f32_e32 vcc, s11, v1
	v_cndmask_b32_e32 v1, v1, v9, vcc
	global_store_dword v[2:3], v1, off
.LBB4_12:                               ;   in Loop: Header=BB4_8 Depth=1
	s_or_b64 exec, exec, s[6:7]
	v_mov_b32_e32 v1, s18
	v_add_co_u32_e32 v2, vcc, s16, v16
	v_addc_co_u32_e32 v3, vcc, v1, v17, vcc
	v_cmp_gt_i64_e32 vcc, s[0:1], v[2:3]
	s_and_saveexec_b64 s[6:7], vcc
	s_cbranch_execz .LBB4_7
; %bb.13:                               ;   in Loop: Header=BB4_8 Depth=1
	v_lshrrev_b32_e32 v1, 11, v5
	v_cvt_f64_u32_e32 v[2:3], v1
	v_ldexp_f64 v[2:3], v[2:3], 32
	v_cvt_f64_u32_e32 v[4:5], v4
	v_add_f64 v[2:3], v[2:3], v[4:5]
	v_mov_b32_e32 v4, 0
	v_mov_b32_e32 v5, 0x3ca00000
	v_fmac_f64_e32 v[4:5], 0x3ca00000, v[2:3]
	v_add_u32_e32 v2, s8, v40
	v_cvt_f32_f64_e32 v1, v[4:5]
	v_ashrrev_i32_e32 v3, 31, v2
	v_mov_b32_e32 v4, s13
	v_add_co_u32_e32 v2, vcc, s12, v2
	v_addc_co_u32_e32 v3, vcc, v4, v3, vcc
	v_mov_b32_e32 v4, s10
	v_fma_f32 v1, s9, v1, v4
	v_cmp_eq_f32_e32 vcc, s11, v1
	v_cndmask_b32_e32 v1, v1, v4, vcc
	global_store_dword v[2:3], v1, off
	s_branch .LBB4_7
.LBB4_14:                               ;   in Loop: Header=BB4_8 Depth=1
	v_cmp_lt_i32_e32 vcc, 2, v18
	s_and_saveexec_b64 s[14:15], vcc
	s_xor_b64 s[14:15], exec, s[14:15]
; %bb.15:                               ;   in Loop: Header=BB4_8 Depth=1
	v_mov_b32_e32 v10, v5
	v_mov_b32_e32 v11, v6
	v_pk_mov_b32 v[2:3], v[10:11], v[10:11] op_sel:[0,1]
	v_pk_mov_b32 v[4:5], v[12:13], v[12:13] op_sel:[0,1]
                                        ; implicit-def: $vgpr12_vgpr13
; %bb.16:                               ;   in Loop: Header=BB4_8 Depth=1
	s_andn2_saveexec_b64 s[14:15], s[14:15]
; %bb.17:                               ;   in Loop: Header=BB4_8 Depth=1
	v_mov_b32_e32 v2, v4
	v_mov_b32_e32 v3, v5
	;; [unrolled: 1-line block ×4, first 2 shown]
; %bb.18:                               ;   in Loop: Header=BB4_8 Depth=1
	s_or_b64 exec, exec, s[14:15]
	s_andn2_saveexec_b64 s[6:7], s[6:7]
	s_cbranch_execz .LBB4_10
.LBB4_19:                               ;   in Loop: Header=BB4_8 Depth=1
	v_cmp_eq_u32_e32 vcc, 1, v18
	s_and_saveexec_b64 s[14:15], vcc
; %bb.20:                               ;   in Loop: Header=BB4_8 Depth=1
	v_mov_b32_e32 v2, v3
	v_mov_b32_e32 v3, v4
	;; [unrolled: 1-line block ×4, first 2 shown]
; %bb.21:                               ;   in Loop: Header=BB4_8 Depth=1
	s_or_b64 exec, exec, s[14:15]
	s_or_b64 exec, exec, s[6:7]
	v_cmp_gt_i64_e32 vcc, s[0:1], v[16:17]
	s_and_saveexec_b64 s[6:7], vcc
	s_cbranch_execnz .LBB4_11
	s_branch .LBB4_12
.LBB4_22:
	s_endpgm
.LBB4_23:
                                        ; implicit-def: $sgpr8_sgpr9
	s_andn2_b64 vcc, exec, s[2:3]
	s_cbranch_vccz .LBB4_4
	s_branch .LBB4_5
	.section	.rodata,"a",@progbits
	.p2align	6, 0x0
	.amdhsa_kernel _ZN2at6native12_GLOBAL__N_143distribution_elementwise_grid_stride_kernelIfLi4EZNS0_9templates4cuda21uniform_and_transformIffPNS_17CUDAGeneratorImplEZZZNS4_14uniform_kernelIS7_EEvRNS_18TensorIteratorBaseEddT_ENKUlvE_clEvENKUlvE0_clEvEUlfE_EEvSA_T1_T2_EUlP25hiprandStatePhilox4_32_10E_ZNS1_27distribution_nullary_kernelIff15HIP_vector_typeIdLj2EES7_SJ_SE_EEvSA_SG_RKT3_T4_EUlifE_EEvlNS_15PhiloxCudaStateESF_SG_
		.amdhsa_group_segment_fixed_size 0
		.amdhsa_private_segment_fixed_size 0
		.amdhsa_kernarg_size 328
		.amdhsa_user_sgpr_count 6
		.amdhsa_user_sgpr_private_segment_buffer 1
		.amdhsa_user_sgpr_dispatch_ptr 0
		.amdhsa_user_sgpr_queue_ptr 0
		.amdhsa_user_sgpr_kernarg_segment_ptr 1
		.amdhsa_user_sgpr_dispatch_id 0
		.amdhsa_user_sgpr_flat_scratch_init 0
		.amdhsa_user_sgpr_kernarg_preload_length 0
		.amdhsa_user_sgpr_kernarg_preload_offset 0
		.amdhsa_user_sgpr_private_segment_size 0
		.amdhsa_uses_dynamic_stack 0
		.amdhsa_system_sgpr_private_segment_wavefront_offset 0
		.amdhsa_system_sgpr_workgroup_id_x 1
		.amdhsa_system_sgpr_workgroup_id_y 0
		.amdhsa_system_sgpr_workgroup_id_z 0
		.amdhsa_system_sgpr_workgroup_info 0
		.amdhsa_system_vgpr_workitem_id 0
		.amdhsa_next_free_vgpr 46
		.amdhsa_next_free_sgpr 24
		.amdhsa_accum_offset 48
		.amdhsa_reserve_vcc 1
		.amdhsa_reserve_flat_scratch 0
		.amdhsa_float_round_mode_32 0
		.amdhsa_float_round_mode_16_64 0
		.amdhsa_float_denorm_mode_32 3
		.amdhsa_float_denorm_mode_16_64 3
		.amdhsa_dx10_clamp 1
		.amdhsa_ieee_mode 1
		.amdhsa_fp16_overflow 0
		.amdhsa_tg_split 0
		.amdhsa_exception_fp_ieee_invalid_op 0
		.amdhsa_exception_fp_denorm_src 0
		.amdhsa_exception_fp_ieee_div_zero 0
		.amdhsa_exception_fp_ieee_overflow 0
		.amdhsa_exception_fp_ieee_underflow 0
		.amdhsa_exception_fp_ieee_inexact 0
		.amdhsa_exception_int_div_zero 0
	.end_amdhsa_kernel
	.section	.text._ZN2at6native12_GLOBAL__N_143distribution_elementwise_grid_stride_kernelIfLi4EZNS0_9templates4cuda21uniform_and_transformIffPNS_17CUDAGeneratorImplEZZZNS4_14uniform_kernelIS7_EEvRNS_18TensorIteratorBaseEddT_ENKUlvE_clEvENKUlvE0_clEvEUlfE_EEvSA_T1_T2_EUlP25hiprandStatePhilox4_32_10E_ZNS1_27distribution_nullary_kernelIff15HIP_vector_typeIdLj2EES7_SJ_SE_EEvSA_SG_RKT3_T4_EUlifE_EEvlNS_15PhiloxCudaStateESF_SG_,"axG",@progbits,_ZN2at6native12_GLOBAL__N_143distribution_elementwise_grid_stride_kernelIfLi4EZNS0_9templates4cuda21uniform_and_transformIffPNS_17CUDAGeneratorImplEZZZNS4_14uniform_kernelIS7_EEvRNS_18TensorIteratorBaseEddT_ENKUlvE_clEvENKUlvE0_clEvEUlfE_EEvSA_T1_T2_EUlP25hiprandStatePhilox4_32_10E_ZNS1_27distribution_nullary_kernelIff15HIP_vector_typeIdLj2EES7_SJ_SE_EEvSA_SG_RKT3_T4_EUlifE_EEvlNS_15PhiloxCudaStateESF_SG_,comdat
.Lfunc_end4:
	.size	_ZN2at6native12_GLOBAL__N_143distribution_elementwise_grid_stride_kernelIfLi4EZNS0_9templates4cuda21uniform_and_transformIffPNS_17CUDAGeneratorImplEZZZNS4_14uniform_kernelIS7_EEvRNS_18TensorIteratorBaseEddT_ENKUlvE_clEvENKUlvE0_clEvEUlfE_EEvSA_T1_T2_EUlP25hiprandStatePhilox4_32_10E_ZNS1_27distribution_nullary_kernelIff15HIP_vector_typeIdLj2EES7_SJ_SE_EEvSA_SG_RKT3_T4_EUlifE_EEvlNS_15PhiloxCudaStateESF_SG_, .Lfunc_end4-_ZN2at6native12_GLOBAL__N_143distribution_elementwise_grid_stride_kernelIfLi4EZNS0_9templates4cuda21uniform_and_transformIffPNS_17CUDAGeneratorImplEZZZNS4_14uniform_kernelIS7_EEvRNS_18TensorIteratorBaseEddT_ENKUlvE_clEvENKUlvE0_clEvEUlfE_EEvSA_T1_T2_EUlP25hiprandStatePhilox4_32_10E_ZNS1_27distribution_nullary_kernelIff15HIP_vector_typeIdLj2EES7_SJ_SE_EEvSA_SG_RKT3_T4_EUlifE_EEvlNS_15PhiloxCudaStateESF_SG_
                                        ; -- End function
	.section	.AMDGPU.csdata,"",@progbits
; Kernel info:
; codeLenInByte = 2304
; NumSgprs: 28
; NumVgprs: 46
; NumAgprs: 0
; TotalNumVgprs: 46
; ScratchSize: 0
; MemoryBound: 0
; FloatMode: 240
; IeeeMode: 1
; LDSByteSize: 0 bytes/workgroup (compile time only)
; SGPRBlocks: 3
; VGPRBlocks: 5
; NumSGPRsForWavesPerEU: 28
; NumVGPRsForWavesPerEU: 46
; AccumOffset: 48
; Occupancy: 8
; WaveLimiterHint : 0
; COMPUTE_PGM_RSRC2:SCRATCH_EN: 0
; COMPUTE_PGM_RSRC2:USER_SGPR: 6
; COMPUTE_PGM_RSRC2:TRAP_HANDLER: 0
; COMPUTE_PGM_RSRC2:TGID_X_EN: 1
; COMPUTE_PGM_RSRC2:TGID_Y_EN: 0
; COMPUTE_PGM_RSRC2:TGID_Z_EN: 0
; COMPUTE_PGM_RSRC2:TIDIG_COMP_CNT: 0
; COMPUTE_PGM_RSRC3_GFX90A:ACCUM_OFFSET: 11
; COMPUTE_PGM_RSRC3_GFX90A:TG_SPLIT: 0
	.section	.text._ZN2at6native12_GLOBAL__N_143distribution_elementwise_grid_stride_kernelIfLi4EZNS0_9templates4cuda21uniform_and_transformIffPNS_17CUDAGeneratorImplEZZZNS4_14uniform_kernelIS7_EEvRNS_18TensorIteratorBaseEddT_ENKUlvE_clEvENKUlvE0_clEvEUlfE_EEvSA_T1_T2_EUlP25hiprandStatePhilox4_32_10E_ZNS1_27distribution_nullary_kernelIff15HIP_vector_typeIdLj2EES7_SJ_SE_EEvSA_SG_RKT3_T4_EUlifE0_EEvlNS_15PhiloxCudaStateESF_SG_,"axG",@progbits,_ZN2at6native12_GLOBAL__N_143distribution_elementwise_grid_stride_kernelIfLi4EZNS0_9templates4cuda21uniform_and_transformIffPNS_17CUDAGeneratorImplEZZZNS4_14uniform_kernelIS7_EEvRNS_18TensorIteratorBaseEddT_ENKUlvE_clEvENKUlvE0_clEvEUlfE_EEvSA_T1_T2_EUlP25hiprandStatePhilox4_32_10E_ZNS1_27distribution_nullary_kernelIff15HIP_vector_typeIdLj2EES7_SJ_SE_EEvSA_SG_RKT3_T4_EUlifE0_EEvlNS_15PhiloxCudaStateESF_SG_,comdat
	.globl	_ZN2at6native12_GLOBAL__N_143distribution_elementwise_grid_stride_kernelIfLi4EZNS0_9templates4cuda21uniform_and_transformIffPNS_17CUDAGeneratorImplEZZZNS4_14uniform_kernelIS7_EEvRNS_18TensorIteratorBaseEddT_ENKUlvE_clEvENKUlvE0_clEvEUlfE_EEvSA_T1_T2_EUlP25hiprandStatePhilox4_32_10E_ZNS1_27distribution_nullary_kernelIff15HIP_vector_typeIdLj2EES7_SJ_SE_EEvSA_SG_RKT3_T4_EUlifE0_EEvlNS_15PhiloxCudaStateESF_SG_ ; -- Begin function _ZN2at6native12_GLOBAL__N_143distribution_elementwise_grid_stride_kernelIfLi4EZNS0_9templates4cuda21uniform_and_transformIffPNS_17CUDAGeneratorImplEZZZNS4_14uniform_kernelIS7_EEvRNS_18TensorIteratorBaseEddT_ENKUlvE_clEvENKUlvE0_clEvEUlfE_EEvSA_T1_T2_EUlP25hiprandStatePhilox4_32_10E_ZNS1_27distribution_nullary_kernelIff15HIP_vector_typeIdLj2EES7_SJ_SE_EEvSA_SG_RKT3_T4_EUlifE0_EEvlNS_15PhiloxCudaStateESF_SG_
	.p2align	8
	.type	_ZN2at6native12_GLOBAL__N_143distribution_elementwise_grid_stride_kernelIfLi4EZNS0_9templates4cuda21uniform_and_transformIffPNS_17CUDAGeneratorImplEZZZNS4_14uniform_kernelIS7_EEvRNS_18TensorIteratorBaseEddT_ENKUlvE_clEvENKUlvE0_clEvEUlfE_EEvSA_T1_T2_EUlP25hiprandStatePhilox4_32_10E_ZNS1_27distribution_nullary_kernelIff15HIP_vector_typeIdLj2EES7_SJ_SE_EEvSA_SG_RKT3_T4_EUlifE0_EEvlNS_15PhiloxCudaStateESF_SG_,@function
_ZN2at6native12_GLOBAL__N_143distribution_elementwise_grid_stride_kernelIfLi4EZNS0_9templates4cuda21uniform_and_transformIffPNS_17CUDAGeneratorImplEZZZNS4_14uniform_kernelIS7_EEvRNS_18TensorIteratorBaseEddT_ENKUlvE_clEvENKUlvE0_clEvEUlfE_EEvSA_T1_T2_EUlP25hiprandStatePhilox4_32_10E_ZNS1_27distribution_nullary_kernelIff15HIP_vector_typeIdLj2EES7_SJ_SE_EEvSA_SG_RKT3_T4_EUlifE0_EEvlNS_15PhiloxCudaStateESF_SG_: ; @_ZN2at6native12_GLOBAL__N_143distribution_elementwise_grid_stride_kernelIfLi4EZNS0_9templates4cuda21uniform_and_transformIffPNS_17CUDAGeneratorImplEZZZNS4_14uniform_kernelIS7_EEvRNS_18TensorIteratorBaseEddT_ENKUlvE_clEvENKUlvE0_clEvEUlfE_EEvSA_T1_T2_EUlP25hiprandStatePhilox4_32_10E_ZNS1_27distribution_nullary_kernelIff15HIP_vector_typeIdLj2EES7_SJ_SE_EEvSA_SG_RKT3_T4_EUlifE0_EEvlNS_15PhiloxCudaStateESF_SG_
; %bb.0:
	s_load_dword s2, s[4:5], 0x20
	s_load_dwordx2 s[0:1], s[4:5], 0x10
	s_load_dwordx4 s[24:27], s[4:5], 0x0
	s_waitcnt lgkmcnt(0)
	s_bitcmp0_b32 s2, 0
	s_mov_b32 s2, 0
	v_pk_mov_b32 v[2:3], s[0:1], s[0:1] op_sel:[0,1]
	v_pk_mov_b32 v[12:13], s[26:27], s[26:27] op_sel:[0,1]
	s_cbranch_scc1 .LBB5_2
; %bb.1:
	v_pk_mov_b32 v[2:3], s[0:1], s[0:1] op_sel:[0,1]
	flat_load_dwordx2 v[2:3], v[2:3]
	v_pk_mov_b32 v[4:5], s[26:27], s[26:27] op_sel:[0,1]
	flat_load_dwordx2 v[12:13], v[4:5]
	s_load_dwordx2 s[0:1], s[4:5], 0x18
	s_waitcnt lgkmcnt(0)
	v_mov_b32_e32 v1, s1
	s_waitcnt vmcnt(0)
	v_add_co_u32_e32 v2, vcc, s0, v2
	v_addc_co_u32_e32 v3, vcc, v3, v1, vcc
.LBB5_2:
	s_load_dword s0, s[4:5], 0x15c
	s_load_dword s7, s[4:5], 0x150
	s_waitcnt lgkmcnt(0)
	s_and_b32 s8, s0, 0xffff
	s_add_u32 s9, s24, -1
	s_mul_i32 s33, s7, s8
	s_addc_u32 s3, s25, -1
	s_lshl_b32 s62, s33, 2
	s_cmp_lg_u64 s[2:3], 0
	s_mov_b64 s[0:1], -1
	s_cbranch_scc0 .LBB5_51
; %bb.3:
	v_cvt_f32_u32_e32 v1, s62
	v_cvt_f32_ubyte0_e32 v4, 0
	s_sub_u32 s2, 0, s62
	s_subb_u32 s10, 0, 0
	v_madmk_f32 v1, v4, 0x4f800000, v1
	v_rcp_f32_e32 v1, v1
	v_mul_f32_e32 v1, 0x5f7ffffc, v1
	v_mul_f32_e32 v4, 0x2f800000, v1
	v_trunc_f32_e32 v4, v4
	v_madmk_f32 v1, v4, 0xcf800000, v1
	v_cvt_u32_f32_e32 v4, v4
	v_cvt_u32_f32_e32 v1, v1
	v_readfirstlane_b32 s11, v4
	v_readfirstlane_b32 s12, v1
	s_mul_i32 s13, s2, s11
	s_mul_hi_u32 s15, s2, s12
	s_mul_i32 s14, s10, s12
	s_add_i32 s13, s15, s13
	s_add_i32 s13, s13, s14
	s_mul_i32 s16, s2, s12
	s_mul_hi_u32 s14, s12, s13
	s_mul_i32 s15, s12, s13
	s_mul_hi_u32 s12, s12, s16
	s_add_u32 s12, s12, s15
	s_addc_u32 s14, 0, s14
	s_mul_hi_u32 s17, s11, s16
	s_mul_i32 s16, s11, s16
	s_add_u32 s12, s12, s16
	s_mul_hi_u32 s15, s11, s13
	s_addc_u32 s12, s14, s17
	s_addc_u32 s14, s15, 0
	s_mul_i32 s13, s11, s13
	s_add_u32 s12, s12, s13
	s_addc_u32 s13, 0, s14
	v_add_co_u32_e32 v1, vcc, s12, v1
	s_cmp_lg_u64 vcc, 0
	s_addc_u32 s11, s11, s13
	v_readfirstlane_b32 s13, v1
	s_mul_i32 s12, s2, s11
	s_mul_hi_u32 s14, s2, s13
	s_add_i32 s12, s14, s12
	s_mul_i32 s10, s10, s13
	s_add_i32 s12, s12, s10
	s_mul_i32 s2, s2, s13
	s_mul_hi_u32 s14, s11, s2
	s_mul_i32 s15, s11, s2
	s_mul_i32 s17, s13, s12
	s_mul_hi_u32 s2, s13, s2
	s_mul_hi_u32 s16, s13, s12
	s_add_u32 s2, s2, s17
	s_addc_u32 s13, 0, s16
	s_add_u32 s2, s2, s15
	s_mul_hi_u32 s10, s11, s12
	s_addc_u32 s2, s13, s14
	s_addc_u32 s10, s10, 0
	s_mul_i32 s12, s11, s12
	s_add_u32 s2, s2, s12
	s_addc_u32 s10, 0, s10
	v_add_co_u32_e32 v1, vcc, s2, v1
	s_cmp_lg_u64 vcc, 0
	s_addc_u32 s12, s11, s10
	s_ashr_i32 s10, s3, 31
	s_add_u32 s2, s9, s10
	s_mov_b32 s11, s10
	s_addc_u32 s3, s3, s10
	s_xor_b64 s[2:3], s[2:3], s[10:11]
	v_readfirstlane_b32 s15, v1
	s_mul_i32 s14, s2, s12
	s_mul_hi_u32 s16, s2, s15
	s_mul_hi_u32 s13, s2, s12
	s_add_u32 s14, s16, s14
	s_addc_u32 s13, 0, s13
	s_mul_hi_u32 s17, s3, s15
	s_mul_i32 s15, s3, s15
	s_add_u32 s14, s14, s15
	s_mul_hi_u32 s16, s3, s12
	s_addc_u32 s13, s13, s17
	s_addc_u32 s14, s16, 0
	s_mul_i32 s12, s3, s12
	s_add_u32 s12, s13, s12
	s_addc_u32 s13, 0, s14
	s_add_u32 s14, s12, 1
	s_addc_u32 s15, s13, 0
	s_add_u32 s16, s12, 2
	s_mul_i32 s18, s62, s13
	s_mul_hi_u32 s19, s62, s12
	s_addc_u32 s17, s13, 0
	s_add_i32 s19, s19, s18
	s_mul_i32 s18, s62, s12
	v_mov_b32_e32 v1, s18
	v_sub_co_u32_e32 v1, vcc, s2, v1
	s_cmp_lg_u64 vcc, 0
	s_subb_u32 s2, s3, s19
	v_subrev_co_u32_e32 v4, vcc, s62, v1
	s_cmp_lg_u64 vcc, 0
	s_subb_u32 s3, s2, 0
	v_readfirstlane_b32 s18, v4
	s_cmp_ge_u32 s18, s62
	s_cselect_b32 s18, -1, 0
	s_cmp_eq_u32 s3, 0
	s_cselect_b32 s3, s18, -1
	s_cmp_lg_u32 s3, 0
	s_cselect_b32 s3, s17, s15
	v_readfirstlane_b32 s15, v1
	s_cselect_b32 s14, s16, s14
	s_cmp_ge_u32 s15, s62
	s_cselect_b32 s15, -1, 0
	s_cmp_eq_u32 s2, 0
	s_cselect_b32 s2, s15, -1
	s_cmp_lg_u32 s2, 0
	s_cselect_b32 s3, s3, s13
	s_cselect_b32 s2, s14, s12
	s_xor_b64 s[2:3], s[2:3], s[10:11]
	s_sub_u32 s2, s2, s10
	s_subb_u32 s3, s3, s10
	s_cbranch_execnz .LBB5_5
.LBB5_4:
	v_cvt_f32_u32_e32 v1, s62
	s_sub_i32 s0, 0, s62
	s_mov_b32 s3, 0
	v_rcp_iflag_f32_e32 v1, v1
	v_mul_f32_e32 v1, 0x4f7ffffe, v1
	v_cvt_u32_f32_e32 v1, v1
	v_readfirstlane_b32 s1, v1
	s_mul_i32 s0, s0, s1
	s_mul_hi_u32 s0, s1, s0
	s_add_i32 s1, s1, s0
	s_mul_hi_u32 s0, s9, s1
	s_mul_i32 s2, s0, s62
	s_sub_i32 s2, s9, s2
	s_add_i32 s1, s0, 1
	s_sub_i32 s9, s2, s62
	s_cmp_ge_u32 s2, s62
	s_cselect_b32 s0, s1, s0
	s_cselect_b32 s2, s9, s2
	s_add_i32 s1, s0, 1
	s_cmp_ge_u32 s2, s62
	s_cselect_b32 s2, s1, s0
.LBB5_5:
	v_mov_b32_e32 v1, 0
	v_mov_b32_e32 v4, s6
	v_mad_u64_u32 v[14:15], s[0:1], s8, v4, v[0:1]
	s_add_u32 s0, s2, 1
	s_addc_u32 s1, s3, 0
	s_mul_hi_u32 s2, s7, s8
	s_mul_i32 s1, s33, s1
	s_mul_hi_u32 s3, s33, s0
	s_add_i32 s1, s3, s1
	s_mul_i32 s2, s2, s0
	s_add_i32 s1, s1, s2
	s_mul_i32 s0, s33, s0
	s_lshl_b64 s[26:27], s[0:1], 2
	v_cmp_gt_i64_e32 vcc, s[26:27], v[14:15]
	s_and_saveexec_b64 s[0:1], vcc
	s_cbranch_execz .LBB5_50
; %bb.6:
	s_mov_b32 s0, 0x5384540f
	v_mov_b32_e32 v0, v13
	v_add_co_u32_e32 v22, vcc, s0, v12
	s_mov_b32 s0, 0x646e171e
	v_add_co_u32_e32 v23, vcc, s0, v0
	s_mov_b32 s0, 0x1715609d
	;; [unrolled: 2-line block ×6, first 2 shown]
	v_alignbit_b32 v29, v3, v2, 2
	s_mov_b32 s64, 0xd2511f53
	v_add_co_u32_e32 v28, vcc, s0, v12
	v_mad_u64_u32 v[4:5], s[0:1], v29, s64, 0
	v_xor_b32_e32 v1, v5, v13
	v_xor_b32_e32 v1, v1, v15
	s_mov_b32 s65, 0xcd9e8d57
	v_mad_u64_u32 v[6:7], s[0:1], v1, s65, 0
	v_xor_b32_e32 v1, v28, v7
	v_mad_u64_u32 v[8:9], s[0:1], v14, s65, 0
	v_and_b32_e32 v18, 3, v2
	v_xor_b32_e32 v1, v1, v8
	v_xor_b32_e32 v2, v12, v9
	v_lshrrev_b32_e32 v30, 2, v3
	v_mad_u64_u32 v[10:11], s[0:1], v1, s64, 0
	v_xor_b32_e32 v2, v2, v30
	v_xor_b32_e32 v1, v27, v11
	v_mad_u64_u32 v[2:3], s[0:1], v2, s64, 0
	v_xor_b32_e32 v1, v1, v2
	v_mad_u64_u32 v[8:9], s[0:1], v1, s65, 0
	s_mov_b32 s0, 0xbb67ae85
	v_add_co_u32_e32 v31, vcc, s0, v0
	v_xor_b32_e32 v2, v31, v3
	v_xor_b32_e32 v2, v2, v4
	v_xor_b32_e32 v1, v26, v9
	v_mad_u64_u32 v[2:3], s[0:1], v2, s65, 0
	v_xor_b32_e32 v1, v1, v2
	v_mad_u64_u32 v[4:5], s[0:1], v1, s64, 0
	s_mov_b32 s0, 0x3c6ef372
	v_add_co_u32_e32 v32, vcc, s0, v12
	v_xor_b32_e32 v2, v32, v3
	v_xor_b32_e32 v2, v2, v6
	v_xor_b32_e32 v1, v25, v5
	v_mad_u64_u32 v[2:3], s[0:1], v2, s64, 0
	v_xor_b32_e32 v1, v1, v2
	v_mad_u64_u32 v[6:7], s[0:1], v1, s65, 0
	s_mov_b32 s0, 0x32370b8f
	v_add_co_u32_e32 v33, vcc, s0, v0
	v_xor_b32_e32 v2, v33, v3
	v_xor_b32_e32 v2, v2, v10
	v_xor_b32_e32 v1, v24, v7
	v_mad_u64_u32 v[2:3], s[0:1], v2, s65, 0
	v_xor_b32_e32 v1, v1, v2
	v_mad_u64_u32 v[10:11], s[0:1], v1, s64, 0
	s_mov_b32 s0, 0x78dde6e4
	v_add_co_u32_e32 v34, vcc, s0, v12
	v_xor_b32_e32 v2, v34, v3
	v_xor_b32_e32 v2, v2, v8
	v_xor_b32_e32 v1, v23, v11
	v_mad_u64_u32 v[2:3], s[0:1], v2, s64, 0
	v_xor_b32_e32 v1, v1, v2
	v_mad_u64_u32 v[8:9], s[0:1], v1, s65, 0
	s_mov_b32 s0, 0xa9066899
	v_add_co_u32_e32 v35, vcc, s0, v0
	v_xor_b32_e32 v2, v35, v3
	v_xor_b32_e32 v2, v2, v4
	v_xor_b32_e32 v1, v22, v9
	v_mad_u64_u32 v[2:3], s[0:1], v2, s65, 0
	v_xor_b32_e32 v1, v1, v2
	v_mad_u64_u32 v[4:5], s[0:1], v1, s64, 0
	s_mov_b32 s0, 0xb54cda56
	v_add_co_u32_e32 v36, vcc, s0, v12
	v_xor_b32_e32 v2, v36, v3
	v_add_co_u32_e32 v21, vcc, 0xdb3d7428, v0
	v_xor_b32_e32 v2, v2, v6
	v_xor_b32_e32 v1, v21, v5
	v_mad_u64_u32 v[2:3], s[0:1], v2, s64, 0
	v_xor_b32_e32 v1, v1, v2
	v_mad_u64_u32 v[6:7], s[0:1], v1, s65, 0
	s_mov_b32 s0, 0x1fd5c5a3
	v_add_co_u32_e32 v37, vcc, s0, v0
	v_xor_b32_e32 v0, v37, v3
	v_xor_b32_e32 v0, v0, v10
	v_mad_u64_u32 v[0:1], s[0:1], v0, s65, 0
	s_mov_b32 s0, 0xf1bbcdc8
	s_load_dwordx8 s[8:15], s[4:5], 0x30
	v_add_co_u32_e32 v38, vcc, s0, v12
	v_xor_b32_e32 v1, v38, v1
	v_xor_b32_e32 v1, v1, v8
	s_add_u32 s34, s4, 48
	v_mad_u64_u32 v[8:9], s[0:1], v1, s64, 0
	s_addc_u32 s35, s5, 0
	s_waitcnt lgkmcnt(0)
	s_add_i32 s0, s8, -1
	s_cmp_gt_u32 s0, 1
	s_cselect_b64 s[40:41], -1, 0
	s_cmp_lg_u32 s8, 0
	s_cselect_b64 s[42:43], -1, 0
	s_add_u32 s44, s4, 0xf4
	s_addc_u32 s45, s5, 0
	s_min_u32 s1, s0, 15
	s_cmp_gt_u32 s8, 1
	s_cselect_b64 s[46:47], -1, 0
	s_load_dwordx2 s[48:49], s[4:5], 0xf4
	s_load_dwordx2 s[50:51], s[4:5], 0x138
	s_load_dwordx4 s[28:31], s[4:5], 0x140
	s_add_i32 s1, s1, 1
	s_mov_b32 s8, s13
	s_and_b32 s13, s1, 3
	s_cmp_lg_u32 s0, 2
	s_cselect_b64 s[52:53], -1, 0
	s_and_b32 s15, s1, 28
	v_add_u32_e32 v19, 0x8ff34781, v12
	v_add_u32_e32 v20, 0x96a522ad, v13
	v_xor_b32_e32 v0, v7, v0
	v_xor_b32_e32 v1, v9, v4
	s_cmp_lg_u32 s13, 0
	s_mov_b32 s63, 0
	v_xor_b32_e32 v0, v19, v0
	v_xor_b32_e32 v2, v20, v1
	v_mov_b32_e32 v1, v6
	v_mov_b32_e32 v3, v8
	s_mov_b64 s[54:55], 0
	s_cselect_b64 s[56:57], -1, 0
	v_mov_b32_e32 v39, v14
	v_mov_b32_e32 v40, v15
	s_branch .LBB5_9
.LBB5_7:                                ;   in Loop: Header=BB5_9 Depth=1
	v_lshrrev_b32_e32 v0, 11, v3
	v_cvt_f64_u32_e32 v[0:1], v0
	v_ldexp_f64 v[0:1], v[0:1], 32
	v_cvt_f64_u32_e32 v[2:3], v2
	v_add_f64 v[0:1], v[0:1], v[2:3]
	v_mov_b32_e32 v2, 0
	v_mov_b32_e32 v3, 0x3ca00000
	v_fmac_f64_e32 v[2:3], 0x3ca00000, v[0:1]
	v_cvt_f32_f64_e32 v0, v[2:3]
	s_waitcnt lgkmcnt(0)
	v_mov_b32_e32 v1, s29
	v_fma_f32 v0, s28, v0, v1
	v_cmp_eq_f32_e32 vcc, s30, v0
	v_cndmask_b32_e32 v0, v0, v1, vcc
	global_store_dword v8, v0, s[50:51]
.LBB5_8:                                ;   in Loop: Header=BB5_9 Depth=1
	s_or_b64 exec, exec, s[36:37]
	v_add_co_u32_e32 v14, vcc, s62, v14
	v_addc_co_u32_e32 v15, vcc, 0, v15, vcc
	v_mov_b32_e32 v7, v16
	v_cmp_le_i64_e32 vcc, s[26:27], v[14:15]
	v_pk_mov_b32 v[0:1], v[4:5], v[4:5] op_sel:[0,1]
	s_or_b64 s[54:55], vcc, s[54:55]
	v_pk_mov_b32 v[2:3], v[6:7], v[6:7] op_sel:[0,1]
	s_waitcnt lgkmcnt(0)
	s_barrier
	s_andn2_b64 exec, exec, s[54:55]
	s_cbranch_execz .LBB5_50
.LBB5_9:                                ; =>This Loop Header: Depth=1
                                        ;     Child Loop BB5_24 Depth 2
                                        ;     Child Loop BB5_30 Depth 2
	;; [unrolled: 1-line block ×4, first 2 shown]
	v_add_co_u32_e32 v29, vcc, 1, v29
	v_cndmask_b32_e64 v4, 0, 1, vcc
	v_addc_co_u32_e32 v30, vcc, 0, v30, vcc
	v_cmp_eq_u32_e32 vcc, 0, v30
	v_cndmask_b32_e32 v4, 0, v4, vcc
	v_add_u32_e32 v39, v4, v39
	v_cmp_eq_u32_e32 vcc, 0, v39
	v_cndmask_b32_e32 v4, 0, v4, vcc
	v_add_u32_e32 v40, v4, v40
	v_mad_u64_u32 v[4:5], s[0:1], v29, s64, 0
	v_mad_u64_u32 v[6:7], s[0:1], v39, s65, 0
	v_xor_b32_e32 v5, v5, v13
	v_xor_b32_e32 v7, v7, v12
	v_xor_b32_e32 v5, v40, v5
	v_xor_b32_e32 v7, v30, v7
	v_mad_u64_u32 v[10:11], s[0:1], v5, s65, 0
	v_mad_u64_u32 v[8:9], s[0:1], v7, s64, 0
	v_xor_b32_e32 v5, v28, v11
	v_xor_b32_e32 v5, v5, v6
	v_xor_b32_e32 v6, v31, v9
	v_xor_b32_e32 v6, v6, v4
	;; [unrolled: 6-line block ×10, first 2 shown]
	v_mov_b32_e32 v5, v10
	v_mov_b32_e32 v6, v11
	v_cmp_lt_i32_e32 vcc, 1, v18
	s_and_saveexec_b64 s[0:1], vcc
	s_xor_b64 s[0:1], exec, s[0:1]
	s_cbranch_execz .LBB5_15
; %bb.10:                               ;   in Loop: Header=BB5_9 Depth=1
	v_cmp_lt_i32_e32 vcc, 2, v18
	s_and_saveexec_b64 s[2:3], vcc
	s_xor_b64 s[2:3], exec, s[2:3]
; %bb.11:                               ;   in Loop: Header=BB5_9 Depth=1
	v_mov_b32_e32 v8, v3
	v_mov_b32_e32 v9, v4
	v_pk_mov_b32 v[0:1], v[8:9], v[8:9] op_sel:[0,1]
	v_pk_mov_b32 v[2:3], v[10:11], v[10:11] op_sel:[0,1]
                                        ; implicit-def: $vgpr10_vgpr11
; %bb.12:                               ;   in Loop: Header=BB5_9 Depth=1
	s_andn2_saveexec_b64 s[2:3], s[2:3]
; %bb.13:                               ;   in Loop: Header=BB5_9 Depth=1
	v_mov_b32_e32 v0, v2
	v_mov_b32_e32 v1, v3
	;; [unrolled: 1-line block ×4, first 2 shown]
; %bb.14:                               ;   in Loop: Header=BB5_9 Depth=1
	s_or_b64 exec, exec, s[2:3]
.LBB5_15:                               ;   in Loop: Header=BB5_9 Depth=1
	s_andn2_saveexec_b64 s[0:1], s[0:1]
	s_cbranch_execz .LBB5_19
; %bb.16:                               ;   in Loop: Header=BB5_9 Depth=1
	v_cmp_eq_u32_e32 vcc, 1, v18
	s_and_saveexec_b64 s[2:3], vcc
; %bb.17:                               ;   in Loop: Header=BB5_9 Depth=1
	v_mov_b32_e32 v0, v1
	v_mov_b32_e32 v1, v2
	;; [unrolled: 1-line block ×4, first 2 shown]
; %bb.18:                               ;   in Loop: Header=BB5_9 Depth=1
	s_or_b64 exec, exec, s[2:3]
.LBB5_19:                               ;   in Loop: Header=BB5_9 Depth=1
	s_or_b64 exec, exec, s[0:1]
	v_cndmask_b32_e64 v7, 0, 1, s[40:41]
	v_cmp_gt_i64_e32 vcc, s[24:25], v[14:15]
	v_cmp_ne_u32_e64 s[0:1], 1, v7
	s_and_saveexec_b64 s[2:3], vcc
	s_cbranch_execz .LBB5_35
; %bb.20:                               ;   in Loop: Header=BB5_9 Depth=1
	s_and_b64 vcc, exec, s[0:1]
	s_cbranch_vccnz .LBB5_26
; %bb.21:                               ;   in Loop: Header=BB5_9 Depth=1
	s_andn2_b64 vcc, exec, s[42:43]
	s_cbranch_vccnz .LBB5_27
; %bb.22:                               ;   in Loop: Header=BB5_9 Depth=1
	s_mov_b32 s6, 0
	s_andn2_b64 vcc, exec, s[52:53]
	v_mov_b32_e32 v8, 0
	s_cbranch_vccnz .LBB5_28
; %bb.23:                               ;   in Loop: Header=BB5_9 Depth=1
	s_waitcnt lgkmcnt(0)
	s_mov_b32 s31, 0
	v_mov_b32_e32 v8, 0
	s_mov_b64 s[58:59], s[34:35]
	s_mov_b64 s[60:61], s[44:45]
	v_mov_b32_e32 v7, v14
.LBB5_24:                               ;   Parent Loop BB5_9 Depth=1
                                        ; =>  This Inner Loop Header: Depth=2
	s_load_dwordx8 s[16:23], s[58:59], 0x4
	s_load_dwordx4 s[4:7], s[58:59], 0x24
	s_load_dwordx4 s[36:39], s[60:61], 0x0
	s_add_u32 s58, s58, 48
	s_addc_u32 s59, s59, 0
	s_waitcnt lgkmcnt(0)
	v_mul_hi_u32 v9, s17, v7
	v_add_u32_e32 v9, v7, v9
	v_lshrrev_b32_e32 v9, s18, v9
	v_mul_lo_u32 v10, v9, s16
	v_mul_hi_u32 v11, s20, v9
	v_sub_u32_e32 v7, v7, v10
	v_add_u32_e32 v10, v9, v11
	v_lshrrev_b32_e32 v10, s21, v10
	v_mul_lo_u32 v11, v10, s19
	v_mul_hi_u32 v17, s23, v10
	v_sub_u32_e32 v9, v9, v11
	v_add_u32_e32 v11, v10, v17
	v_mul_lo_u32 v7, v7, s36
	v_mul_lo_u32 v9, v9, s37
	v_lshrrev_b32_e32 v11, s4, v11
	v_add3_u32 v8, v7, v8, v9
	v_mul_lo_u32 v7, v11, s22
	v_mul_hi_u32 v9, s6, v11
	v_sub_u32_e32 v7, v10, v7
	v_add_u32_e32 v9, v11, v9
	v_mul_lo_u32 v10, v7, s38
	v_lshrrev_b32_e32 v7, s7, v9
	s_add_i32 s31, s31, 4
	v_mul_lo_u32 v9, v7, s5
	s_add_u32 s60, s60, 16
	v_sub_u32_e32 v9, v11, v9
	s_addc_u32 s61, s61, 0
	v_mul_lo_u32 v9, v9, s39
	s_cmp_lg_u32 s15, s31
	v_add3_u32 v8, v10, v8, v9
	s_cbranch_scc1 .LBB5_24
; %bb.25:                               ;   in Loop: Header=BB5_9 Depth=1
	s_mov_b32 s6, s15
	s_andn2_b64 vcc, exec, s[56:57]
	s_cbranch_vccz .LBB5_29
	s_branch .LBB5_31
.LBB5_26:                               ;   in Loop: Header=BB5_9 Depth=1
                                        ; implicit-def: $vgpr8
	s_branch .LBB5_32
.LBB5_27:                               ;   in Loop: Header=BB5_9 Depth=1
	v_mov_b32_e32 v8, 0
	s_branch .LBB5_31
.LBB5_28:                               ;   in Loop: Header=BB5_9 Depth=1
	v_mov_b32_e32 v7, v14
	s_andn2_b64 vcc, exec, s[56:57]
	s_cbranch_vccnz .LBB5_31
.LBB5_29:                               ;   in Loop: Header=BB5_9 Depth=1
	s_lshl_b32 s4, s6, 2
	s_add_u32 s4, s44, s4
	s_addc_u32 s5, s45, 0
	s_mul_i32 s6, s6, 12
	s_add_u32 s6, s34, s6
	s_addc_u32 s7, s35, 0
	s_mov_b32 s16, s13
.LBB5_30:                               ;   Parent Loop BB5_9 Depth=1
                                        ; =>  This Inner Loop Header: Depth=2
	s_load_dwordx2 s[18:19], s[6:7], 0x4
	s_load_dword s17, s[6:7], 0xc
	s_load_dword s20, s[4:5], 0x0
	s_add_u32 s6, s6, 12
	s_addc_u32 s7, s7, 0
	s_waitcnt lgkmcnt(0)
	v_mul_hi_u32 v9, s19, v7
	v_add_u32_e32 v9, v7, v9
	v_lshrrev_b32_e32 v9, s17, v9
	s_add_u32 s4, s4, 4
	v_mul_lo_u32 v10, v9, s18
	s_addc_u32 s5, s5, 0
	s_add_i32 s16, s16, -1
	v_sub_u32_e32 v10, v7, v10
	s_cmp_lg_u32 s16, 0
	v_mov_b32_e32 v7, v9
	v_mad_u64_u32 v[8:9], s[18:19], v10, s20, v[8:9]
	s_cbranch_scc1 .LBB5_30
.LBB5_31:                               ;   in Loop: Header=BB5_9 Depth=1
	s_cbranch_execnz .LBB5_34
.LBB5_32:                               ;   in Loop: Header=BB5_9 Depth=1
	v_mul_hi_u32 v7, v14, s10
	v_add_u32_e32 v7, v7, v14
	v_lshrrev_b32_e32 v7, s11, v7
	v_mul_lo_u32 v8, v7, s9
	v_sub_u32_e32 v8, v14, v8
	s_andn2_b64 vcc, exec, s[46:47]
	s_waitcnt lgkmcnt(0)
	v_mul_lo_u32 v8, v8, s48
	s_cbranch_vccnz .LBB5_34
; %bb.33:                               ;   in Loop: Header=BB5_9 Depth=1
	v_mul_hi_u32 v9, s8, v7
	v_add_u32_e32 v9, v7, v9
	v_lshrrev_b32_e32 v9, s14, v9
	v_mul_lo_u32 v9, v9, s12
	v_sub_u32_e32 v7, v7, v9
	v_mad_u64_u32 v[8:9], s[4:5], v7, s49, v[8:9]
.LBB5_34:                               ;   in Loop: Header=BB5_9 Depth=1
	v_lshrrev_b32_e32 v1, 11, v1
	v_cvt_f64_u32_e32 v[10:11], v1
	v_ldexp_f64 v[10:11], v[10:11], 32
	v_cvt_f64_u32_e32 v[0:1], v0
	v_add_f64 v[0:1], v[10:11], v[0:1]
	v_mov_b32_e32 v10, 0
	v_mov_b32_e32 v11, 0x3ca00000
	v_fmac_f64_e32 v[10:11], 0x3ca00000, v[0:1]
	v_cvt_f32_f64_e32 v0, v[10:11]
	s_waitcnt lgkmcnt(0)
	v_mov_b32_e32 v1, s29
	v_fma_f32 v0, s28, v0, v1
	v_cmp_eq_f32_e32 vcc, s30, v0
	v_cndmask_b32_e32 v0, v0, v1, vcc
	global_store_dword v8, v0, s[50:51]
.LBB5_35:                               ;   in Loop: Header=BB5_9 Depth=1
	s_or_b64 exec, exec, s[2:3]
	v_mov_b32_e32 v1, s63
	v_add_co_u32_e32 v0, vcc, s33, v14
	v_addc_co_u32_e32 v1, vcc, v15, v1, vcc
	v_cmp_gt_i64_e32 vcc, s[24:25], v[0:1]
	s_and_saveexec_b64 s[36:37], vcc
	s_cbranch_execz .LBB5_8
; %bb.36:                               ;   in Loop: Header=BB5_9 Depth=1
	s_and_b64 vcc, exec, s[0:1]
	s_cbranch_vccnz .LBB5_42
; %bb.37:                               ;   in Loop: Header=BB5_9 Depth=1
	s_andn2_b64 vcc, exec, s[42:43]
	s_cbranch_vccnz .LBB5_43
; %bb.38:                               ;   in Loop: Header=BB5_9 Depth=1
	s_mov_b32 s2, 0
	s_andn2_b64 vcc, exec, s[52:53]
	v_mov_b32_e32 v8, 0
	s_cbranch_vccnz .LBB5_44
; %bb.39:                               ;   in Loop: Header=BB5_9 Depth=1
	s_waitcnt lgkmcnt(0)
	s_mov_b32 s31, 0
	v_mov_b32_e32 v8, 0
	s_mov_b64 s[38:39], s[34:35]
	s_mov_b64 s[58:59], s[44:45]
	v_mov_b32_e32 v1, v0
.LBB5_40:                               ;   Parent Loop BB5_9 Depth=1
                                        ; =>  This Inner Loop Header: Depth=2
	s_load_dwordx8 s[0:7], s[38:39], 0x4
	s_load_dwordx4 s[16:19], s[38:39], 0x24
	s_load_dwordx4 s[20:23], s[58:59], 0x0
	s_add_u32 s38, s38, 48
	s_addc_u32 s39, s39, 0
	s_waitcnt lgkmcnt(0)
	v_mul_hi_u32 v7, s1, v1
	v_add_u32_e32 v7, v1, v7
	v_lshrrev_b32_e32 v7, s2, v7
	v_mul_lo_u32 v9, v7, s0
	v_mul_hi_u32 v10, s4, v7
	v_sub_u32_e32 v1, v1, v9
	v_add_u32_e32 v9, v7, v10
	v_lshrrev_b32_e32 v9, s5, v9
	v_mul_lo_u32 v10, v9, s3
	v_mul_hi_u32 v11, s7, v9
	v_sub_u32_e32 v7, v7, v10
	v_add_u32_e32 v10, v9, v11
	v_mul_lo_u32 v1, v1, s20
	v_mul_lo_u32 v7, v7, s21
	v_lshrrev_b32_e32 v10, s16, v10
	v_add3_u32 v7, v1, v8, v7
	v_mul_lo_u32 v1, v10, s6
	v_mul_hi_u32 v8, s18, v10
	v_sub_u32_e32 v1, v9, v1
	v_add_u32_e32 v8, v10, v8
	v_mul_lo_u32 v9, v1, s22
	v_lshrrev_b32_e32 v1, s19, v8
	s_add_i32 s31, s31, 4
	v_mul_lo_u32 v8, v1, s17
	s_add_u32 s58, s58, 16
	v_sub_u32_e32 v8, v10, v8
	s_addc_u32 s59, s59, 0
	v_mul_lo_u32 v8, v8, s23
	s_cmp_eq_u32 s15, s31
	v_add3_u32 v8, v9, v7, v8
	s_cbranch_scc0 .LBB5_40
; %bb.41:                               ;   in Loop: Header=BB5_9 Depth=1
	s_mov_b32 s2, s15
	s_andn2_b64 vcc, exec, s[56:57]
	s_cbranch_vccz .LBB5_45
	s_branch .LBB5_47
.LBB5_42:                               ;   in Loop: Header=BB5_9 Depth=1
                                        ; implicit-def: $vgpr8
	s_branch .LBB5_48
.LBB5_43:                               ;   in Loop: Header=BB5_9 Depth=1
	v_mov_b32_e32 v8, 0
	s_branch .LBB5_47
.LBB5_44:                               ;   in Loop: Header=BB5_9 Depth=1
	v_mov_b32_e32 v1, v0
	s_andn2_b64 vcc, exec, s[56:57]
	s_cbranch_vccnz .LBB5_47
.LBB5_45:                               ;   in Loop: Header=BB5_9 Depth=1
	s_lshl_b32 s0, s2, 2
	s_add_u32 s0, s44, s0
	s_addc_u32 s1, s45, 0
	s_mul_i32 s2, s2, 12
	s_add_u32 s2, s34, s2
	s_addc_u32 s3, s35, 0
	s_mov_b32 s4, s13
.LBB5_46:                               ;   Parent Loop BB5_9 Depth=1
                                        ; =>  This Inner Loop Header: Depth=2
	s_load_dwordx2 s[6:7], s[2:3], 0x4
	s_load_dword s5, s[2:3], 0xc
	s_load_dword s16, s[0:1], 0x0
	s_add_u32 s2, s2, 12
	s_addc_u32 s3, s3, 0
	s_waitcnt lgkmcnt(0)
	v_mul_hi_u32 v7, s7, v1
	v_add_u32_e32 v7, v1, v7
	v_lshrrev_b32_e32 v7, s5, v7
	s_add_u32 s0, s0, 4
	v_mul_lo_u32 v9, v7, s6
	s_addc_u32 s1, s1, 0
	s_add_i32 s4, s4, -1
	v_sub_u32_e32 v9, v1, v9
	s_cmp_lg_u32 s4, 0
	v_mov_b32_e32 v1, v7
	v_mad_u64_u32 v[8:9], s[6:7], v9, s16, v[8:9]
	s_cbranch_scc1 .LBB5_46
.LBB5_47:                               ;   in Loop: Header=BB5_9 Depth=1
	s_cbranch_execnz .LBB5_7
.LBB5_48:                               ;   in Loop: Header=BB5_9 Depth=1
	v_mul_hi_u32 v1, v0, s10
	v_add_u32_e32 v1, v1, v0
	v_lshrrev_b32_e32 v1, s11, v1
	v_mul_lo_u32 v7, v1, s9
	v_sub_u32_e32 v0, v0, v7
	s_andn2_b64 vcc, exec, s[46:47]
	s_waitcnt lgkmcnt(0)
	v_mul_lo_u32 v8, v0, s48
	s_cbranch_vccnz .LBB5_7
; %bb.49:                               ;   in Loop: Header=BB5_9 Depth=1
	v_mul_hi_u32 v0, s8, v1
	v_add_u32_e32 v0, v1, v0
	v_lshrrev_b32_e32 v0, s14, v0
	v_mul_lo_u32 v0, v0, s12
	v_sub_u32_e32 v0, v1, v0
	v_mad_u64_u32 v[8:9], s[0:1], v0, s49, v[8:9]
	s_branch .LBB5_7
.LBB5_50:
	s_endpgm
.LBB5_51:
                                        ; implicit-def: $sgpr2_sgpr3
	s_andn2_b64 vcc, exec, s[0:1]
	s_cbranch_vccz .LBB5_4
	s_branch .LBB5_5
	.section	.rodata,"a",@progbits
	.p2align	6, 0x0
	.amdhsa_kernel _ZN2at6native12_GLOBAL__N_143distribution_elementwise_grid_stride_kernelIfLi4EZNS0_9templates4cuda21uniform_and_transformIffPNS_17CUDAGeneratorImplEZZZNS4_14uniform_kernelIS7_EEvRNS_18TensorIteratorBaseEddT_ENKUlvE_clEvENKUlvE0_clEvEUlfE_EEvSA_T1_T2_EUlP25hiprandStatePhilox4_32_10E_ZNS1_27distribution_nullary_kernelIff15HIP_vector_typeIdLj2EES7_SJ_SE_EEvSA_SG_RKT3_T4_EUlifE0_EEvlNS_15PhiloxCudaStateESF_SG_
		.amdhsa_group_segment_fixed_size 0
		.amdhsa_private_segment_fixed_size 0
		.amdhsa_kernarg_size 592
		.amdhsa_user_sgpr_count 6
		.amdhsa_user_sgpr_private_segment_buffer 1
		.amdhsa_user_sgpr_dispatch_ptr 0
		.amdhsa_user_sgpr_queue_ptr 0
		.amdhsa_user_sgpr_kernarg_segment_ptr 1
		.amdhsa_user_sgpr_dispatch_id 0
		.amdhsa_user_sgpr_flat_scratch_init 0
		.amdhsa_user_sgpr_kernarg_preload_length 0
		.amdhsa_user_sgpr_kernarg_preload_offset 0
		.amdhsa_user_sgpr_private_segment_size 0
		.amdhsa_uses_dynamic_stack 0
		.amdhsa_system_sgpr_private_segment_wavefront_offset 0
		.amdhsa_system_sgpr_workgroup_id_x 1
		.amdhsa_system_sgpr_workgroup_id_y 0
		.amdhsa_system_sgpr_workgroup_id_z 0
		.amdhsa_system_sgpr_workgroup_info 0
		.amdhsa_system_vgpr_workitem_id 0
		.amdhsa_next_free_vgpr 41
		.amdhsa_next_free_sgpr 66
		.amdhsa_accum_offset 44
		.amdhsa_reserve_vcc 1
		.amdhsa_reserve_flat_scratch 0
		.amdhsa_float_round_mode_32 0
		.amdhsa_float_round_mode_16_64 0
		.amdhsa_float_denorm_mode_32 3
		.amdhsa_float_denorm_mode_16_64 3
		.amdhsa_dx10_clamp 1
		.amdhsa_ieee_mode 1
		.amdhsa_fp16_overflow 0
		.amdhsa_tg_split 0
		.amdhsa_exception_fp_ieee_invalid_op 0
		.amdhsa_exception_fp_denorm_src 0
		.amdhsa_exception_fp_ieee_div_zero 0
		.amdhsa_exception_fp_ieee_overflow 0
		.amdhsa_exception_fp_ieee_underflow 0
		.amdhsa_exception_fp_ieee_inexact 0
		.amdhsa_exception_int_div_zero 0
	.end_amdhsa_kernel
	.section	.text._ZN2at6native12_GLOBAL__N_143distribution_elementwise_grid_stride_kernelIfLi4EZNS0_9templates4cuda21uniform_and_transformIffPNS_17CUDAGeneratorImplEZZZNS4_14uniform_kernelIS7_EEvRNS_18TensorIteratorBaseEddT_ENKUlvE_clEvENKUlvE0_clEvEUlfE_EEvSA_T1_T2_EUlP25hiprandStatePhilox4_32_10E_ZNS1_27distribution_nullary_kernelIff15HIP_vector_typeIdLj2EES7_SJ_SE_EEvSA_SG_RKT3_T4_EUlifE0_EEvlNS_15PhiloxCudaStateESF_SG_,"axG",@progbits,_ZN2at6native12_GLOBAL__N_143distribution_elementwise_grid_stride_kernelIfLi4EZNS0_9templates4cuda21uniform_and_transformIffPNS_17CUDAGeneratorImplEZZZNS4_14uniform_kernelIS7_EEvRNS_18TensorIteratorBaseEddT_ENKUlvE_clEvENKUlvE0_clEvEUlfE_EEvSA_T1_T2_EUlP25hiprandStatePhilox4_32_10E_ZNS1_27distribution_nullary_kernelIff15HIP_vector_typeIdLj2EES7_SJ_SE_EEvSA_SG_RKT3_T4_EUlifE0_EEvlNS_15PhiloxCudaStateESF_SG_,comdat
.Lfunc_end5:
	.size	_ZN2at6native12_GLOBAL__N_143distribution_elementwise_grid_stride_kernelIfLi4EZNS0_9templates4cuda21uniform_and_transformIffPNS_17CUDAGeneratorImplEZZZNS4_14uniform_kernelIS7_EEvRNS_18TensorIteratorBaseEddT_ENKUlvE_clEvENKUlvE0_clEvEUlfE_EEvSA_T1_T2_EUlP25hiprandStatePhilox4_32_10E_ZNS1_27distribution_nullary_kernelIff15HIP_vector_typeIdLj2EES7_SJ_SE_EEvSA_SG_RKT3_T4_EUlifE0_EEvlNS_15PhiloxCudaStateESF_SG_, .Lfunc_end5-_ZN2at6native12_GLOBAL__N_143distribution_elementwise_grid_stride_kernelIfLi4EZNS0_9templates4cuda21uniform_and_transformIffPNS_17CUDAGeneratorImplEZZZNS4_14uniform_kernelIS7_EEvRNS_18TensorIteratorBaseEddT_ENKUlvE_clEvENKUlvE0_clEvEUlfE_EEvSA_T1_T2_EUlP25hiprandStatePhilox4_32_10E_ZNS1_27distribution_nullary_kernelIff15HIP_vector_typeIdLj2EES7_SJ_SE_EEvSA_SG_RKT3_T4_EUlifE0_EEvlNS_15PhiloxCudaStateESF_SG_
                                        ; -- End function
	.section	.AMDGPU.csdata,"",@progbits
; Kernel info:
; codeLenInByte = 3356
; NumSgprs: 70
; NumVgprs: 41
; NumAgprs: 0
; TotalNumVgprs: 41
; ScratchSize: 0
; MemoryBound: 0
; FloatMode: 240
; IeeeMode: 1
; LDSByteSize: 0 bytes/workgroup (compile time only)
; SGPRBlocks: 8
; VGPRBlocks: 5
; NumSGPRsForWavesPerEU: 70
; NumVGPRsForWavesPerEU: 41
; AccumOffset: 44
; Occupancy: 8
; WaveLimiterHint : 1
; COMPUTE_PGM_RSRC2:SCRATCH_EN: 0
; COMPUTE_PGM_RSRC2:USER_SGPR: 6
; COMPUTE_PGM_RSRC2:TRAP_HANDLER: 0
; COMPUTE_PGM_RSRC2:TGID_X_EN: 1
; COMPUTE_PGM_RSRC2:TGID_Y_EN: 0
; COMPUTE_PGM_RSRC2:TGID_Z_EN: 0
; COMPUTE_PGM_RSRC2:TIDIG_COMP_CNT: 0
; COMPUTE_PGM_RSRC3_GFX90A:ACCUM_OFFSET: 10
; COMPUTE_PGM_RSRC3_GFX90A:TG_SPLIT: 0
	.section	.text._ZN2at6native12_GLOBAL__N_143distribution_elementwise_grid_stride_kernelIfLi4EZNS0_9templates4cuda21uniform_and_transformIffPNS_17CUDAGeneratorImplEZZZNS4_14uniform_kernelIS7_EEvRNS_18TensorIteratorBaseEddT_ENKUlvE_clEvENKUlvE0_clEvEUlfE_EEvSA_T1_T2_EUlP25hiprandStatePhilox4_32_10E0_ZNS1_27distribution_nullary_kernelIff15HIP_vector_typeIfLj4EES7_SJ_SE_EEvSA_SG_RKT3_T4_EUlifE_EEvlNS_15PhiloxCudaStateESF_SG_,"axG",@progbits,_ZN2at6native12_GLOBAL__N_143distribution_elementwise_grid_stride_kernelIfLi4EZNS0_9templates4cuda21uniform_and_transformIffPNS_17CUDAGeneratorImplEZZZNS4_14uniform_kernelIS7_EEvRNS_18TensorIteratorBaseEddT_ENKUlvE_clEvENKUlvE0_clEvEUlfE_EEvSA_T1_T2_EUlP25hiprandStatePhilox4_32_10E0_ZNS1_27distribution_nullary_kernelIff15HIP_vector_typeIfLj4EES7_SJ_SE_EEvSA_SG_RKT3_T4_EUlifE_EEvlNS_15PhiloxCudaStateESF_SG_,comdat
	.globl	_ZN2at6native12_GLOBAL__N_143distribution_elementwise_grid_stride_kernelIfLi4EZNS0_9templates4cuda21uniform_and_transformIffPNS_17CUDAGeneratorImplEZZZNS4_14uniform_kernelIS7_EEvRNS_18TensorIteratorBaseEddT_ENKUlvE_clEvENKUlvE0_clEvEUlfE_EEvSA_T1_T2_EUlP25hiprandStatePhilox4_32_10E0_ZNS1_27distribution_nullary_kernelIff15HIP_vector_typeIfLj4EES7_SJ_SE_EEvSA_SG_RKT3_T4_EUlifE_EEvlNS_15PhiloxCudaStateESF_SG_ ; -- Begin function _ZN2at6native12_GLOBAL__N_143distribution_elementwise_grid_stride_kernelIfLi4EZNS0_9templates4cuda21uniform_and_transformIffPNS_17CUDAGeneratorImplEZZZNS4_14uniform_kernelIS7_EEvRNS_18TensorIteratorBaseEddT_ENKUlvE_clEvENKUlvE0_clEvEUlfE_EEvSA_T1_T2_EUlP25hiprandStatePhilox4_32_10E0_ZNS1_27distribution_nullary_kernelIff15HIP_vector_typeIfLj4EES7_SJ_SE_EEvSA_SG_RKT3_T4_EUlifE_EEvlNS_15PhiloxCudaStateESF_SG_
	.p2align	8
	.type	_ZN2at6native12_GLOBAL__N_143distribution_elementwise_grid_stride_kernelIfLi4EZNS0_9templates4cuda21uniform_and_transformIffPNS_17CUDAGeneratorImplEZZZNS4_14uniform_kernelIS7_EEvRNS_18TensorIteratorBaseEddT_ENKUlvE_clEvENKUlvE0_clEvEUlfE_EEvSA_T1_T2_EUlP25hiprandStatePhilox4_32_10E0_ZNS1_27distribution_nullary_kernelIff15HIP_vector_typeIfLj4EES7_SJ_SE_EEvSA_SG_RKT3_T4_EUlifE_EEvlNS_15PhiloxCudaStateESF_SG_,@function
_ZN2at6native12_GLOBAL__N_143distribution_elementwise_grid_stride_kernelIfLi4EZNS0_9templates4cuda21uniform_and_transformIffPNS_17CUDAGeneratorImplEZZZNS4_14uniform_kernelIS7_EEvRNS_18TensorIteratorBaseEddT_ENKUlvE_clEvENKUlvE0_clEvEUlfE_EEvSA_T1_T2_EUlP25hiprandStatePhilox4_32_10E0_ZNS1_27distribution_nullary_kernelIff15HIP_vector_typeIfLj4EES7_SJ_SE_EEvSA_SG_RKT3_T4_EUlifE_EEvlNS_15PhiloxCudaStateESF_SG_: ; @_ZN2at6native12_GLOBAL__N_143distribution_elementwise_grid_stride_kernelIfLi4EZNS0_9templates4cuda21uniform_and_transformIffPNS_17CUDAGeneratorImplEZZZNS4_14uniform_kernelIS7_EEvRNS_18TensorIteratorBaseEddT_ENKUlvE_clEvENKUlvE0_clEvEUlfE_EEvSA_T1_T2_EUlP25hiprandStatePhilox4_32_10E0_ZNS1_27distribution_nullary_kernelIff15HIP_vector_typeIfLj4EES7_SJ_SE_EEvSA_SG_RKT3_T4_EUlifE_EEvlNS_15PhiloxCudaStateESF_SG_
; %bb.0:
	s_load_dword s7, s[4:5], 0x20
	s_load_dwordx2 s[10:11], s[4:5], 0x10
	s_load_dwordx4 s[0:3], s[4:5], 0x0
	s_mov_b32 s8, 0
	s_waitcnt lgkmcnt(0)
	s_bitcmp0_b32 s7, 0
	v_pk_mov_b32 v[2:3], s[10:11], s[10:11] op_sel:[0,1]
	v_pk_mov_b32 v[14:15], s[2:3], s[2:3] op_sel:[0,1]
	s_cbranch_scc1 .LBB6_2
; %bb.1:
	v_pk_mov_b32 v[2:3], s[10:11], s[10:11] op_sel:[0,1]
	flat_load_dwordx2 v[2:3], v[2:3]
	v_pk_mov_b32 v[4:5], s[2:3], s[2:3] op_sel:[0,1]
	flat_load_dwordx2 v[14:15], v[4:5]
	s_load_dwordx2 s[2:3], s[4:5], 0x18
	s_waitcnt lgkmcnt(0)
	v_mov_b32_e32 v1, s3
	s_waitcnt vmcnt(0)
	v_add_co_u32_e32 v2, vcc, s2, v2
	v_addc_co_u32_e32 v3, vcc, v3, v1, vcc
.LBB6_2:
	s_load_dword s2, s[4:5], 0x54
	s_load_dword s14, s[4:5], 0x48
	s_waitcnt lgkmcnt(0)
	s_and_b32 s7, s2, 0xffff
	s_add_u32 s10, s0, -1
	s_mul_i32 s16, s14, s7
	s_addc_u32 s9, s1, -1
	s_lshl_b32 s17, s16, 2
	s_cmp_lg_u64 s[8:9], 0
	s_mov_b64 s[2:3], -1
	s_cbranch_scc0 .LBB6_27
; %bb.3:
	v_cvt_f32_u32_e32 v1, s17
	v_cvt_f32_ubyte0_e32 v4, 0
	s_sub_u32 s8, 0, s17
	s_subb_u32 s11, 0, 0
	v_madmk_f32 v1, v4, 0x4f800000, v1
	v_rcp_f32_e32 v1, v1
	v_mul_f32_e32 v1, 0x5f7ffffc, v1
	v_mul_f32_e32 v4, 0x2f800000, v1
	v_trunc_f32_e32 v4, v4
	v_madmk_f32 v1, v4, 0xcf800000, v1
	v_cvt_u32_f32_e32 v4, v4
	v_cvt_u32_f32_e32 v1, v1
	v_readfirstlane_b32 s12, v4
	v_readfirstlane_b32 s13, v1
	s_mul_i32 s15, s8, s12
	s_mul_hi_u32 s19, s8, s13
	s_mul_i32 s18, s11, s13
	s_add_i32 s15, s19, s15
	s_add_i32 s15, s15, s18
	s_mul_i32 s20, s8, s13
	s_mul_hi_u32 s18, s13, s15
	s_mul_i32 s19, s13, s15
	s_mul_hi_u32 s13, s13, s20
	s_add_u32 s13, s13, s19
	s_addc_u32 s18, 0, s18
	s_mul_hi_u32 s21, s12, s20
	s_mul_i32 s20, s12, s20
	s_add_u32 s13, s13, s20
	s_mul_hi_u32 s19, s12, s15
	s_addc_u32 s13, s18, s21
	s_addc_u32 s18, s19, 0
	s_mul_i32 s15, s12, s15
	s_add_u32 s13, s13, s15
	s_addc_u32 s15, 0, s18
	v_add_co_u32_e32 v1, vcc, s13, v1
	s_cmp_lg_u64 vcc, 0
	s_addc_u32 s12, s12, s15
	v_readfirstlane_b32 s15, v1
	s_mul_i32 s13, s8, s12
	s_mul_hi_u32 s18, s8, s15
	s_add_i32 s13, s18, s13
	s_mul_i32 s11, s11, s15
	s_add_i32 s13, s13, s11
	s_mul_i32 s8, s8, s15
	s_mul_hi_u32 s18, s12, s8
	s_mul_i32 s19, s12, s8
	s_mul_i32 s21, s15, s13
	s_mul_hi_u32 s8, s15, s8
	s_mul_hi_u32 s20, s15, s13
	s_add_u32 s8, s8, s21
	s_addc_u32 s15, 0, s20
	s_add_u32 s8, s8, s19
	s_mul_hi_u32 s11, s12, s13
	s_addc_u32 s8, s15, s18
	s_addc_u32 s11, s11, 0
	s_mul_i32 s13, s12, s13
	s_add_u32 s8, s8, s13
	s_addc_u32 s11, 0, s11
	v_add_co_u32_e32 v1, vcc, s8, v1
	s_cmp_lg_u64 vcc, 0
	s_addc_u32 s11, s12, s11
	s_ashr_i32 s12, s9, 31
	s_add_u32 s8, s10, s12
	s_mov_b32 s13, s12
	s_addc_u32 s9, s9, s12
	s_xor_b64 s[8:9], s[8:9], s[12:13]
	v_readfirstlane_b32 s19, v1
	s_mul_i32 s18, s8, s11
	s_mul_hi_u32 s20, s8, s19
	s_mul_hi_u32 s15, s8, s11
	s_add_u32 s18, s20, s18
	s_addc_u32 s15, 0, s15
	s_mul_hi_u32 s21, s9, s19
	s_mul_i32 s19, s9, s19
	s_add_u32 s18, s18, s19
	s_mul_hi_u32 s20, s9, s11
	s_addc_u32 s15, s15, s21
	s_addc_u32 s18, s20, 0
	s_mul_i32 s11, s9, s11
	s_add_u32 s11, s15, s11
	s_addc_u32 s15, 0, s18
	s_add_u32 s18, s11, 1
	s_addc_u32 s19, s15, 0
	s_add_u32 s20, s11, 2
	s_mul_i32 s22, s17, s15
	s_mul_hi_u32 s23, s17, s11
	s_addc_u32 s21, s15, 0
	s_add_i32 s23, s23, s22
	s_mul_i32 s22, s17, s11
	v_mov_b32_e32 v1, s22
	v_sub_co_u32_e32 v1, vcc, s8, v1
	s_cmp_lg_u64 vcc, 0
	s_subb_u32 s8, s9, s23
	v_subrev_co_u32_e32 v4, vcc, s17, v1
	s_cmp_lg_u64 vcc, 0
	s_subb_u32 s9, s8, 0
	v_readfirstlane_b32 s22, v4
	s_cmp_ge_u32 s22, s17
	s_cselect_b32 s22, -1, 0
	s_cmp_eq_u32 s9, 0
	s_cselect_b32 s9, s22, -1
	s_cmp_lg_u32 s9, 0
	s_cselect_b32 s9, s21, s19
	v_readfirstlane_b32 s19, v1
	s_cselect_b32 s18, s20, s18
	s_cmp_ge_u32 s19, s17
	s_cselect_b32 s19, -1, 0
	s_cmp_eq_u32 s8, 0
	s_cselect_b32 s8, s19, -1
	s_cmp_lg_u32 s8, 0
	s_cselect_b32 s9, s9, s15
	s_cselect_b32 s8, s18, s11
	s_xor_b64 s[8:9], s[8:9], s[12:13]
	s_sub_u32 s8, s8, s12
	s_subb_u32 s9, s9, s12
	s_cbranch_execnz .LBB6_5
.LBB6_4:
	v_cvt_f32_u32_e32 v1, s17
	s_sub_i32 s2, 0, s17
	s_mov_b32 s9, 0
	v_rcp_iflag_f32_e32 v1, v1
	v_mul_f32_e32 v1, 0x4f7ffffe, v1
	v_cvt_u32_f32_e32 v1, v1
	v_readfirstlane_b32 s3, v1
	s_mul_i32 s2, s2, s3
	s_mul_hi_u32 s2, s3, s2
	s_add_i32 s3, s3, s2
	s_mul_hi_u32 s2, s10, s3
	s_mul_i32 s8, s2, s17
	s_sub_i32 s8, s10, s8
	s_add_i32 s3, s2, 1
	s_sub_i32 s10, s8, s17
	s_cmp_ge_u32 s8, s17
	s_cselect_b32 s2, s3, s2
	s_cselect_b32 s8, s10, s8
	s_add_i32 s3, s2, 1
	s_cmp_ge_u32 s8, s17
	s_cselect_b32 s8, s3, s2
.LBB6_5:
	v_mov_b32_e32 v1, 0
	v_mov_b32_e32 v4, s6
	v_mad_u64_u32 v[16:17], s[2:3], s7, v4, v[0:1]
	s_add_u32 s2, s8, 1
	s_addc_u32 s3, s9, 0
	s_mul_hi_u32 s8, s14, s7
	s_mul_i32 s3, s16, s3
	s_mul_hi_u32 s9, s16, s2
	s_add_i32 s3, s9, s3
	s_mul_i32 s8, s8, s2
	s_add_i32 s3, s3, s8
	s_mul_i32 s2, s16, s2
	s_lshl_b64 s[2:3], s[2:3], 2
	v_cmp_gt_i64_e32 vcc, s[2:3], v[16:17]
	s_and_saveexec_b64 s[8:9], vcc
	s_cbranch_execz .LBB6_26
; %bb.6:
	s_load_dwordx2 s[12:13], s[4:5], 0x30
	s_load_dwordx4 s[8:11], s[4:5], 0x38
	s_mov_b32 s4, 0x5384540f
	v_mov_b32_e32 v4, v15
	v_add_co_u32_e32 v22, vcc, s4, v14
	s_mov_b32 s4, 0x646e171e
	v_add_co_u32_e32 v23, vcc, s4, v4
	s_mov_b32 s4, 0x1715609d
	;; [unrolled: 2-line block ×6, first 2 shown]
	v_alignbit_b32 v29, v3, v2, 2
	s_mov_b32 s19, 0xd2511f53
	v_add_co_u32_e32 v28, vcc, s4, v14
	v_mad_u64_u32 v[6:7], s[4:5], v29, s19, 0
	v_xor_b32_e32 v1, v7, v15
	v_xor_b32_e32 v1, v1, v17
	s_mov_b32 s20, 0xcd9e8d57
	v_mad_u64_u32 v[8:9], s[4:5], v1, s20, 0
	v_xor_b32_e32 v1, v28, v9
	v_mad_u64_u32 v[10:11], s[4:5], v16, s20, 0
	v_and_b32_e32 v18, 3, v2
	v_xor_b32_e32 v1, v1, v10
	v_xor_b32_e32 v2, v14, v11
	v_lshrrev_b32_e32 v30, 2, v3
	v_mad_u64_u32 v[12:13], s[4:5], v1, s19, 0
	v_xor_b32_e32 v2, v2, v30
	v_xor_b32_e32 v1, v27, v13
	v_mad_u64_u32 v[2:3], s[4:5], v2, s19, 0
	v_xor_b32_e32 v1, v1, v2
	v_mad_u64_u32 v[10:11], s[4:5], v1, s20, 0
	s_mov_b32 s4, 0xbb67ae85
	v_add_co_u32_e32 v31, vcc, s4, v4
	v_xor_b32_e32 v2, v31, v3
	v_xor_b32_e32 v2, v2, v6
	v_xor_b32_e32 v1, v26, v11
	v_mad_u64_u32 v[2:3], s[4:5], v2, s20, 0
	v_xor_b32_e32 v1, v1, v2
	v_mad_u64_u32 v[6:7], s[4:5], v1, s19, 0
	s_mov_b32 s4, 0x3c6ef372
	v_add_co_u32_e32 v32, vcc, s4, v14
	v_xor_b32_e32 v2, v32, v3
	;; [unrolled: 8-line block ×6, first 2 shown]
	v_add_co_u32_e32 v21, vcc, 0xdb3d7428, v4
	v_xor_b32_e32 v2, v2, v8
	v_xor_b32_e32 v1, v21, v7
	v_mad_u64_u32 v[2:3], s[4:5], v2, s19, 0
	v_xor_b32_e32 v1, v1, v2
	v_mad_u64_u32 v[8:9], s[4:5], v1, s20, 0
	s_mov_b32 s4, 0x1fd5c5a3
	v_add_co_u32_e32 v37, vcc, s4, v4
	v_xor_b32_e32 v1, v37, v3
	v_xor_b32_e32 v1, v1, v12
	v_mad_u64_u32 v[2:3], s[4:5], v1, s20, 0
	s_mov_b32 s4, 0xf1bbcdc8
	v_add_u32_e32 v19, 0x8ff34781, v14
	v_xor_b32_e32 v1, v9, v2
	v_add_co_u32_e32 v38, vcc, s4, v14
	v_xor_b32_e32 v2, v19, v1
	v_xor_b32_e32 v1, v38, v3
	;; [unrolled: 1-line block ×3, first 2 shown]
	v_mad_u64_u32 v[10:11], s[4:5], v1, s19, 0
	v_add_u32_e32 v20, 0x96a522ad, v15
	v_xor_b32_e32 v1, v11, v6
	s_mul_i32 s4, s6, s7
	v_xor_b32_e32 v4, v20, v1
	v_add_u32_e32 v1, s4, v0
	s_waitcnt lgkmcnt(0)
	s_mul_i32 s4, s14, s8
	s_mul_i32 s4, s4, s7
	s_lshl_b32 s25, s4, 2
	s_mul_i32 s4, s14, 3
	s_add_i32 s4, s6, s4
	s_mul_i32 s4, s4, s7
	v_mul_lo_u32 v39, s8, v1
	v_add_u32_e32 v1, s4, v0
	s_lshl_b32 s4, s14, 1
	s_add_i32 s4, s6, s4
	s_mul_i32 s4, s4, s7
	v_mul_lo_u32 v40, s8, v1
	v_add_u32_e32 v1, s4, v0
	s_add_i32 s4, s6, s14
	s_mul_i32 s4, s4, s7
	s_mov_b32 s18, 0
	v_add_u32_e32 v0, s4, v0
	v_mov_b32_e32 v3, v8
	v_mov_b32_e32 v5, v10
	s_lshl_b32 s21, s16, 1
	s_mov_b32 s22, s18
	s_mul_i32 s23, s16, 3
	s_mov_b32 s24, s18
	v_mul_lo_u32 v41, s8, v1
	v_mul_lo_u32 v42, s8, v0
	s_mov_b64 s[4:5], 0
	s_mov_b32 s8, s18
	v_mov_b32_e32 v43, v16
	v_mov_b32_e32 v44, v17
	s_branch .LBB6_8
.LBB6_7:                                ;   in Loop: Header=BB6_8 Depth=1
	s_or_b64 exec, exec, s[6:7]
	v_add_co_u32_e32 v16, vcc, s17, v16
	v_addc_co_u32_e32 v17, vcc, 0, v17, vcc
	v_mov_b32_e32 v9, v0
	s_add_i32 s8, s8, s25
	v_cmp_le_i64_e32 vcc, s[2:3], v[16:17]
	v_pk_mov_b32 v[2:3], v[6:7], v[6:7] op_sel:[0,1]
	s_or_b64 s[4:5], vcc, s[4:5]
	v_pk_mov_b32 v[4:5], v[8:9], v[8:9] op_sel:[0,1]
	s_barrier
	s_andn2_b64 exec, exec, s[4:5]
	s_cbranch_execz .LBB6_26
.LBB6_8:                                ; =>This Inner Loop Header: Depth=1
	v_add_co_u32_e32 v29, vcc, 1, v29
	v_cndmask_b32_e64 v0, 0, 1, vcc
	v_addc_co_u32_e32 v30, vcc, 0, v30, vcc
	v_cmp_eq_u32_e32 vcc, 0, v30
	v_cndmask_b32_e32 v0, 0, v0, vcc
	v_add_u32_e32 v43, v0, v43
	v_cmp_eq_u32_e32 vcc, 0, v43
	v_cndmask_b32_e32 v0, 0, v0, vcc
	v_add_u32_e32 v44, v0, v44
	v_mad_u64_u32 v[0:1], s[6:7], v29, s19, 0
	v_mad_u64_u32 v[6:7], s[6:7], v43, s20, 0
	v_xor_b32_e32 v1, v1, v15
	v_xor_b32_e32 v7, v7, v14
	v_xor_b32_e32 v1, v44, v1
	v_xor_b32_e32 v7, v30, v7
	v_mad_u64_u32 v[10:11], s[6:7], v1, s20, 0
	v_mad_u64_u32 v[8:9], s[6:7], v7, s19, 0
	v_xor_b32_e32 v1, v28, v11
	v_xor_b32_e32 v1, v1, v6
	v_xor_b32_e32 v6, v31, v9
	v_xor_b32_e32 v6, v6, v0
	;; [unrolled: 6-line block ×10, first 2 shown]
	v_mov_b32_e32 v7, v12
	v_mov_b32_e32 v8, v13
	v_cmp_lt_i32_e32 vcc, 1, v18
	s_and_saveexec_b64 s[6:7], vcc
	s_xor_b64 s[6:7], exec, s[6:7]
	s_cbranch_execnz .LBB6_18
; %bb.9:                                ;   in Loop: Header=BB6_8 Depth=1
	s_andn2_saveexec_b64 s[6:7], s[6:7]
	s_cbranch_execnz .LBB6_23
.LBB6_10:                               ;   in Loop: Header=BB6_8 Depth=1
	s_or_b64 exec, exec, s[6:7]
	v_cmp_gt_i64_e32 vcc, s[0:1], v[16:17]
	s_and_saveexec_b64 s[6:7], vcc
	s_cbranch_execz .LBB6_12
.LBB6_11:                               ;   in Loop: Header=BB6_8 Depth=1
	v_cvt_f32_u32_e32 v1, v2
	v_mov_b32_e32 v2, 0x2f800000
	v_add_u32_e32 v9, s8, v39
	v_ashrrev_i32_e32 v11, 31, v9
	v_fmac_f32_e32 v2, 0x2f800000, v1
	v_mov_b32_e32 v1, s13
	v_add_co_u32_e32 v10, vcc, s12, v9
	v_addc_co_u32_e32 v11, vcc, v1, v11, vcc
	v_mov_b32_e32 v1, s10
	v_fma_f32 v2, s9, v2, v1
	v_cmp_eq_f32_e32 vcc, s11, v2
	v_cndmask_b32_e32 v1, v2, v1, vcc
	global_store_dword v[10:11], v1, off
.LBB6_12:                               ;   in Loop: Header=BB6_8 Depth=1
	s_or_b64 exec, exec, s[6:7]
	v_mov_b32_e32 v1, s18
	v_add_co_u32_e32 v10, vcc, s16, v16
	v_addc_co_u32_e32 v11, vcc, v1, v17, vcc
	v_cmp_gt_i64_e32 vcc, s[0:1], v[10:11]
	s_and_saveexec_b64 s[6:7], vcc
	s_cbranch_execz .LBB6_14
; %bb.13:                               ;   in Loop: Header=BB6_8 Depth=1
	v_cvt_f32_u32_e32 v1, v3
	v_mov_b32_e32 v9, 0x2f800000
	v_add_u32_e32 v2, s8, v42
	v_ashrrev_i32_e32 v3, 31, v2
	v_fmac_f32_e32 v9, 0x2f800000, v1
	v_mov_b32_e32 v1, s13
	v_add_co_u32_e32 v2, vcc, s12, v2
	v_addc_co_u32_e32 v3, vcc, v1, v3, vcc
	v_mov_b32_e32 v1, s10
	v_fma_f32 v9, s9, v9, v1
	v_cmp_eq_f32_e32 vcc, s11, v9
	v_cndmask_b32_e32 v1, v9, v1, vcc
	global_store_dword v[2:3], v1, off
.LBB6_14:                               ;   in Loop: Header=BB6_8 Depth=1
	s_or_b64 exec, exec, s[6:7]
	v_mov_b32_e32 v1, s22
	v_add_co_u32_e32 v2, vcc, s21, v16
	v_addc_co_u32_e32 v3, vcc, v1, v17, vcc
	v_cmp_gt_i64_e32 vcc, s[0:1], v[2:3]
	s_and_saveexec_b64 s[6:7], vcc
	s_cbranch_execz .LBB6_16
; %bb.15:                               ;   in Loop: Header=BB6_8 Depth=1
	v_cvt_f32_u32_e32 v1, v4
	v_mov_b32_e32 v4, 0x2f800000
	v_add_u32_e32 v2, s8, v41
	v_ashrrev_i32_e32 v3, 31, v2
	v_fmac_f32_e32 v4, 0x2f800000, v1
	v_mov_b32_e32 v1, s13
	v_add_co_u32_e32 v2, vcc, s12, v2
	v_addc_co_u32_e32 v3, vcc, v1, v3, vcc
	v_mov_b32_e32 v1, s10
	v_fma_f32 v4, s9, v4, v1
	v_cmp_eq_f32_e32 vcc, s11, v4
	v_cndmask_b32_e32 v1, v4, v1, vcc
	global_store_dword v[2:3], v1, off
.LBB6_16:                               ;   in Loop: Header=BB6_8 Depth=1
	s_or_b64 exec, exec, s[6:7]
	v_mov_b32_e32 v1, s24
	v_add_co_u32_e32 v2, vcc, s23, v16
	v_addc_co_u32_e32 v3, vcc, v1, v17, vcc
	v_cmp_gt_i64_e32 vcc, s[0:1], v[2:3]
	s_and_saveexec_b64 s[6:7], vcc
	s_cbranch_execz .LBB6_7
; %bb.17:                               ;   in Loop: Header=BB6_8 Depth=1
	v_cvt_f32_u32_e32 v1, v5
	v_mov_b32_e32 v4, 0x2f800000
	v_add_u32_e32 v2, s8, v40
	v_ashrrev_i32_e32 v3, 31, v2
	v_fmac_f32_e32 v4, 0x2f800000, v1
	v_mov_b32_e32 v1, s13
	v_add_co_u32_e32 v2, vcc, s12, v2
	v_addc_co_u32_e32 v3, vcc, v1, v3, vcc
	v_mov_b32_e32 v1, s10
	v_fma_f32 v4, s9, v4, v1
	v_cmp_eq_f32_e32 vcc, s11, v4
	v_cndmask_b32_e32 v1, v4, v1, vcc
	global_store_dword v[2:3], v1, off
	s_branch .LBB6_7
.LBB6_18:                               ;   in Loop: Header=BB6_8 Depth=1
	v_cmp_lt_i32_e32 vcc, 2, v18
	s_and_saveexec_b64 s[14:15], vcc
	s_xor_b64 s[14:15], exec, s[14:15]
; %bb.19:                               ;   in Loop: Header=BB6_8 Depth=1
	v_mov_b32_e32 v10, v5
	v_mov_b32_e32 v11, v6
	v_pk_mov_b32 v[2:3], v[10:11], v[10:11] op_sel:[0,1]
	v_pk_mov_b32 v[4:5], v[12:13], v[12:13] op_sel:[0,1]
                                        ; implicit-def: $vgpr12_vgpr13
; %bb.20:                               ;   in Loop: Header=BB6_8 Depth=1
	s_andn2_saveexec_b64 s[14:15], s[14:15]
; %bb.21:                               ;   in Loop: Header=BB6_8 Depth=1
	v_mov_b32_e32 v2, v4
	v_mov_b32_e32 v3, v5
	;; [unrolled: 1-line block ×4, first 2 shown]
; %bb.22:                               ;   in Loop: Header=BB6_8 Depth=1
	s_or_b64 exec, exec, s[14:15]
	s_andn2_saveexec_b64 s[6:7], s[6:7]
	s_cbranch_execz .LBB6_10
.LBB6_23:                               ;   in Loop: Header=BB6_8 Depth=1
	v_cmp_eq_u32_e32 vcc, 1, v18
	s_and_saveexec_b64 s[14:15], vcc
; %bb.24:                               ;   in Loop: Header=BB6_8 Depth=1
	v_mov_b32_e32 v2, v3
	v_mov_b32_e32 v3, v4
	;; [unrolled: 1-line block ×4, first 2 shown]
; %bb.25:                               ;   in Loop: Header=BB6_8 Depth=1
	s_or_b64 exec, exec, s[14:15]
	s_or_b64 exec, exec, s[6:7]
	v_cmp_gt_i64_e32 vcc, s[0:1], v[16:17]
	s_and_saveexec_b64 s[6:7], vcc
	s_cbranch_execnz .LBB6_11
	s_branch .LBB6_12
.LBB6_26:
	s_endpgm
.LBB6_27:
                                        ; implicit-def: $sgpr8_sgpr9
	s_andn2_b64 vcc, exec, s[2:3]
	s_cbranch_vccz .LBB6_4
	s_branch .LBB6_5
	.section	.rodata,"a",@progbits
	.p2align	6, 0x0
	.amdhsa_kernel _ZN2at6native12_GLOBAL__N_143distribution_elementwise_grid_stride_kernelIfLi4EZNS0_9templates4cuda21uniform_and_transformIffPNS_17CUDAGeneratorImplEZZZNS4_14uniform_kernelIS7_EEvRNS_18TensorIteratorBaseEddT_ENKUlvE_clEvENKUlvE0_clEvEUlfE_EEvSA_T1_T2_EUlP25hiprandStatePhilox4_32_10E0_ZNS1_27distribution_nullary_kernelIff15HIP_vector_typeIfLj4EES7_SJ_SE_EEvSA_SG_RKT3_T4_EUlifE_EEvlNS_15PhiloxCudaStateESF_SG_
		.amdhsa_group_segment_fixed_size 0
		.amdhsa_private_segment_fixed_size 0
		.amdhsa_kernarg_size 328
		.amdhsa_user_sgpr_count 6
		.amdhsa_user_sgpr_private_segment_buffer 1
		.amdhsa_user_sgpr_dispatch_ptr 0
		.amdhsa_user_sgpr_queue_ptr 0
		.amdhsa_user_sgpr_kernarg_segment_ptr 1
		.amdhsa_user_sgpr_dispatch_id 0
		.amdhsa_user_sgpr_flat_scratch_init 0
		.amdhsa_user_sgpr_kernarg_preload_length 0
		.amdhsa_user_sgpr_kernarg_preload_offset 0
		.amdhsa_user_sgpr_private_segment_size 0
		.amdhsa_uses_dynamic_stack 0
		.amdhsa_system_sgpr_private_segment_wavefront_offset 0
		.amdhsa_system_sgpr_workgroup_id_x 1
		.amdhsa_system_sgpr_workgroup_id_y 0
		.amdhsa_system_sgpr_workgroup_id_z 0
		.amdhsa_system_sgpr_workgroup_info 0
		.amdhsa_system_vgpr_workitem_id 0
		.amdhsa_next_free_vgpr 48
		.amdhsa_next_free_sgpr 26
		.amdhsa_accum_offset 48
		.amdhsa_reserve_vcc 1
		.amdhsa_reserve_flat_scratch 0
		.amdhsa_float_round_mode_32 0
		.amdhsa_float_round_mode_16_64 0
		.amdhsa_float_denorm_mode_32 3
		.amdhsa_float_denorm_mode_16_64 3
		.amdhsa_dx10_clamp 1
		.amdhsa_ieee_mode 1
		.amdhsa_fp16_overflow 0
		.amdhsa_tg_split 0
		.amdhsa_exception_fp_ieee_invalid_op 0
		.amdhsa_exception_fp_denorm_src 0
		.amdhsa_exception_fp_ieee_div_zero 0
		.amdhsa_exception_fp_ieee_overflow 0
		.amdhsa_exception_fp_ieee_underflow 0
		.amdhsa_exception_fp_ieee_inexact 0
		.amdhsa_exception_int_div_zero 0
	.end_amdhsa_kernel
	.section	.text._ZN2at6native12_GLOBAL__N_143distribution_elementwise_grid_stride_kernelIfLi4EZNS0_9templates4cuda21uniform_and_transformIffPNS_17CUDAGeneratorImplEZZZNS4_14uniform_kernelIS7_EEvRNS_18TensorIteratorBaseEddT_ENKUlvE_clEvENKUlvE0_clEvEUlfE_EEvSA_T1_T2_EUlP25hiprandStatePhilox4_32_10E0_ZNS1_27distribution_nullary_kernelIff15HIP_vector_typeIfLj4EES7_SJ_SE_EEvSA_SG_RKT3_T4_EUlifE_EEvlNS_15PhiloxCudaStateESF_SG_,"axG",@progbits,_ZN2at6native12_GLOBAL__N_143distribution_elementwise_grid_stride_kernelIfLi4EZNS0_9templates4cuda21uniform_and_transformIffPNS_17CUDAGeneratorImplEZZZNS4_14uniform_kernelIS7_EEvRNS_18TensorIteratorBaseEddT_ENKUlvE_clEvENKUlvE0_clEvEUlfE_EEvSA_T1_T2_EUlP25hiprandStatePhilox4_32_10E0_ZNS1_27distribution_nullary_kernelIff15HIP_vector_typeIfLj4EES7_SJ_SE_EEvSA_SG_RKT3_T4_EUlifE_EEvlNS_15PhiloxCudaStateESF_SG_,comdat
.Lfunc_end6:
	.size	_ZN2at6native12_GLOBAL__N_143distribution_elementwise_grid_stride_kernelIfLi4EZNS0_9templates4cuda21uniform_and_transformIffPNS_17CUDAGeneratorImplEZZZNS4_14uniform_kernelIS7_EEvRNS_18TensorIteratorBaseEddT_ENKUlvE_clEvENKUlvE0_clEvEUlfE_EEvSA_T1_T2_EUlP25hiprandStatePhilox4_32_10E0_ZNS1_27distribution_nullary_kernelIff15HIP_vector_typeIfLj4EES7_SJ_SE_EEvSA_SG_RKT3_T4_EUlifE_EEvlNS_15PhiloxCudaStateESF_SG_, .Lfunc_end6-_ZN2at6native12_GLOBAL__N_143distribution_elementwise_grid_stride_kernelIfLi4EZNS0_9templates4cuda21uniform_and_transformIffPNS_17CUDAGeneratorImplEZZZNS4_14uniform_kernelIS7_EEvRNS_18TensorIteratorBaseEddT_ENKUlvE_clEvENKUlvE0_clEvEUlfE_EEvSA_T1_T2_EUlP25hiprandStatePhilox4_32_10E0_ZNS1_27distribution_nullary_kernelIff15HIP_vector_typeIfLj4EES7_SJ_SE_EEvSA_SG_RKT3_T4_EUlifE_EEvlNS_15PhiloxCudaStateESF_SG_
                                        ; -- End function
	.section	.AMDGPU.csdata,"",@progbits
; Kernel info:
; codeLenInByte = 2496
; NumSgprs: 30
; NumVgprs: 48
; NumAgprs: 0
; TotalNumVgprs: 48
; ScratchSize: 0
; MemoryBound: 0
; FloatMode: 240
; IeeeMode: 1
; LDSByteSize: 0 bytes/workgroup (compile time only)
; SGPRBlocks: 3
; VGPRBlocks: 5
; NumSGPRsForWavesPerEU: 30
; NumVGPRsForWavesPerEU: 48
; AccumOffset: 48
; Occupancy: 8
; WaveLimiterHint : 0
; COMPUTE_PGM_RSRC2:SCRATCH_EN: 0
; COMPUTE_PGM_RSRC2:USER_SGPR: 6
; COMPUTE_PGM_RSRC2:TRAP_HANDLER: 0
; COMPUTE_PGM_RSRC2:TGID_X_EN: 1
; COMPUTE_PGM_RSRC2:TGID_Y_EN: 0
; COMPUTE_PGM_RSRC2:TGID_Z_EN: 0
; COMPUTE_PGM_RSRC2:TIDIG_COMP_CNT: 0
; COMPUTE_PGM_RSRC3_GFX90A:ACCUM_OFFSET: 11
; COMPUTE_PGM_RSRC3_GFX90A:TG_SPLIT: 0
	.section	.text._ZN2at6native12_GLOBAL__N_143distribution_elementwise_grid_stride_kernelIfLi4EZNS0_9templates4cuda21uniform_and_transformIffPNS_17CUDAGeneratorImplEZZZNS4_14uniform_kernelIS7_EEvRNS_18TensorIteratorBaseEddT_ENKUlvE_clEvENKUlvE0_clEvEUlfE_EEvSA_T1_T2_EUlP25hiprandStatePhilox4_32_10E0_ZNS1_27distribution_nullary_kernelIff15HIP_vector_typeIfLj4EES7_SJ_SE_EEvSA_SG_RKT3_T4_EUlifE0_EEvlNS_15PhiloxCudaStateESF_SG_,"axG",@progbits,_ZN2at6native12_GLOBAL__N_143distribution_elementwise_grid_stride_kernelIfLi4EZNS0_9templates4cuda21uniform_and_transformIffPNS_17CUDAGeneratorImplEZZZNS4_14uniform_kernelIS7_EEvRNS_18TensorIteratorBaseEddT_ENKUlvE_clEvENKUlvE0_clEvEUlfE_EEvSA_T1_T2_EUlP25hiprandStatePhilox4_32_10E0_ZNS1_27distribution_nullary_kernelIff15HIP_vector_typeIfLj4EES7_SJ_SE_EEvSA_SG_RKT3_T4_EUlifE0_EEvlNS_15PhiloxCudaStateESF_SG_,comdat
	.globl	_ZN2at6native12_GLOBAL__N_143distribution_elementwise_grid_stride_kernelIfLi4EZNS0_9templates4cuda21uniform_and_transformIffPNS_17CUDAGeneratorImplEZZZNS4_14uniform_kernelIS7_EEvRNS_18TensorIteratorBaseEddT_ENKUlvE_clEvENKUlvE0_clEvEUlfE_EEvSA_T1_T2_EUlP25hiprandStatePhilox4_32_10E0_ZNS1_27distribution_nullary_kernelIff15HIP_vector_typeIfLj4EES7_SJ_SE_EEvSA_SG_RKT3_T4_EUlifE0_EEvlNS_15PhiloxCudaStateESF_SG_ ; -- Begin function _ZN2at6native12_GLOBAL__N_143distribution_elementwise_grid_stride_kernelIfLi4EZNS0_9templates4cuda21uniform_and_transformIffPNS_17CUDAGeneratorImplEZZZNS4_14uniform_kernelIS7_EEvRNS_18TensorIteratorBaseEddT_ENKUlvE_clEvENKUlvE0_clEvEUlfE_EEvSA_T1_T2_EUlP25hiprandStatePhilox4_32_10E0_ZNS1_27distribution_nullary_kernelIff15HIP_vector_typeIfLj4EES7_SJ_SE_EEvSA_SG_RKT3_T4_EUlifE0_EEvlNS_15PhiloxCudaStateESF_SG_
	.p2align	8
	.type	_ZN2at6native12_GLOBAL__N_143distribution_elementwise_grid_stride_kernelIfLi4EZNS0_9templates4cuda21uniform_and_transformIffPNS_17CUDAGeneratorImplEZZZNS4_14uniform_kernelIS7_EEvRNS_18TensorIteratorBaseEddT_ENKUlvE_clEvENKUlvE0_clEvEUlfE_EEvSA_T1_T2_EUlP25hiprandStatePhilox4_32_10E0_ZNS1_27distribution_nullary_kernelIff15HIP_vector_typeIfLj4EES7_SJ_SE_EEvSA_SG_RKT3_T4_EUlifE0_EEvlNS_15PhiloxCudaStateESF_SG_,@function
_ZN2at6native12_GLOBAL__N_143distribution_elementwise_grid_stride_kernelIfLi4EZNS0_9templates4cuda21uniform_and_transformIffPNS_17CUDAGeneratorImplEZZZNS4_14uniform_kernelIS7_EEvRNS_18TensorIteratorBaseEddT_ENKUlvE_clEvENKUlvE0_clEvEUlfE_EEvSA_T1_T2_EUlP25hiprandStatePhilox4_32_10E0_ZNS1_27distribution_nullary_kernelIff15HIP_vector_typeIfLj4EES7_SJ_SE_EEvSA_SG_RKT3_T4_EUlifE0_EEvlNS_15PhiloxCudaStateESF_SG_: ; @_ZN2at6native12_GLOBAL__N_143distribution_elementwise_grid_stride_kernelIfLi4EZNS0_9templates4cuda21uniform_and_transformIffPNS_17CUDAGeneratorImplEZZZNS4_14uniform_kernelIS7_EEvRNS_18TensorIteratorBaseEddT_ENKUlvE_clEvENKUlvE0_clEvEUlfE_EEvSA_T1_T2_EUlP25hiprandStatePhilox4_32_10E0_ZNS1_27distribution_nullary_kernelIff15HIP_vector_typeIfLj4EES7_SJ_SE_EEvSA_SG_RKT3_T4_EUlifE0_EEvlNS_15PhiloxCudaStateESF_SG_
; %bb.0:
	s_load_dword s2, s[4:5], 0x20
	s_load_dwordx2 s[0:1], s[4:5], 0x10
	s_load_dwordx4 s[24:27], s[4:5], 0x0
	s_waitcnt lgkmcnt(0)
	s_bitcmp0_b32 s2, 0
	s_mov_b32 s2, 0
	v_pk_mov_b32 v[2:3], s[0:1], s[0:1] op_sel:[0,1]
	v_pk_mov_b32 v[12:13], s[26:27], s[26:27] op_sel:[0,1]
	s_cbranch_scc1 .LBB7_2
; %bb.1:
	v_pk_mov_b32 v[2:3], s[0:1], s[0:1] op_sel:[0,1]
	flat_load_dwordx2 v[2:3], v[2:3]
	v_pk_mov_b32 v[4:5], s[26:27], s[26:27] op_sel:[0,1]
	flat_load_dwordx2 v[12:13], v[4:5]
	s_load_dwordx2 s[0:1], s[4:5], 0x18
	s_waitcnt lgkmcnt(0)
	v_mov_b32_e32 v1, s1
	s_waitcnt vmcnt(0)
	v_add_co_u32_e32 v2, vcc, s0, v2
	v_addc_co_u32_e32 v3, vcc, v3, v1, vcc
.LBB7_2:
	s_load_dword s0, s[4:5], 0x15c
	s_load_dword s7, s[4:5], 0x150
	s_waitcnt lgkmcnt(0)
	s_and_b32 s8, s0, 0xffff
	s_add_u32 s9, s24, -1
	s_mul_i32 s33, s7, s8
	s_addc_u32 s3, s25, -1
	s_lshl_b32 s62, s33, 2
	s_cmp_lg_u64 s[2:3], 0
	s_mov_b64 s[0:1], -1
	s_cbranch_scc0 .LBB7_83
; %bb.3:
	v_cvt_f32_u32_e32 v1, s62
	v_cvt_f32_ubyte0_e32 v4, 0
	s_sub_u32 s2, 0, s62
	s_subb_u32 s10, 0, 0
	v_madmk_f32 v1, v4, 0x4f800000, v1
	v_rcp_f32_e32 v1, v1
	v_mul_f32_e32 v1, 0x5f7ffffc, v1
	v_mul_f32_e32 v4, 0x2f800000, v1
	v_trunc_f32_e32 v4, v4
	v_madmk_f32 v1, v4, 0xcf800000, v1
	v_cvt_u32_f32_e32 v4, v4
	v_cvt_u32_f32_e32 v1, v1
	v_readfirstlane_b32 s11, v4
	v_readfirstlane_b32 s12, v1
	s_mul_i32 s13, s2, s11
	s_mul_hi_u32 s15, s2, s12
	s_mul_i32 s14, s10, s12
	s_add_i32 s13, s15, s13
	s_add_i32 s13, s13, s14
	s_mul_i32 s16, s2, s12
	s_mul_hi_u32 s14, s12, s13
	s_mul_i32 s15, s12, s13
	s_mul_hi_u32 s12, s12, s16
	s_add_u32 s12, s12, s15
	s_addc_u32 s14, 0, s14
	s_mul_hi_u32 s17, s11, s16
	s_mul_i32 s16, s11, s16
	s_add_u32 s12, s12, s16
	s_mul_hi_u32 s15, s11, s13
	s_addc_u32 s12, s14, s17
	s_addc_u32 s14, s15, 0
	s_mul_i32 s13, s11, s13
	s_add_u32 s12, s12, s13
	s_addc_u32 s13, 0, s14
	v_add_co_u32_e32 v1, vcc, s12, v1
	s_cmp_lg_u64 vcc, 0
	s_addc_u32 s11, s11, s13
	v_readfirstlane_b32 s13, v1
	s_mul_i32 s12, s2, s11
	s_mul_hi_u32 s14, s2, s13
	s_add_i32 s12, s14, s12
	s_mul_i32 s10, s10, s13
	s_add_i32 s12, s12, s10
	s_mul_i32 s2, s2, s13
	s_mul_hi_u32 s14, s11, s2
	s_mul_i32 s15, s11, s2
	s_mul_i32 s17, s13, s12
	s_mul_hi_u32 s2, s13, s2
	s_mul_hi_u32 s16, s13, s12
	s_add_u32 s2, s2, s17
	s_addc_u32 s13, 0, s16
	s_add_u32 s2, s2, s15
	s_mul_hi_u32 s10, s11, s12
	s_addc_u32 s2, s13, s14
	s_addc_u32 s10, s10, 0
	s_mul_i32 s12, s11, s12
	s_add_u32 s2, s2, s12
	s_addc_u32 s10, 0, s10
	v_add_co_u32_e32 v1, vcc, s2, v1
	s_cmp_lg_u64 vcc, 0
	s_addc_u32 s12, s11, s10
	s_ashr_i32 s10, s3, 31
	s_add_u32 s2, s9, s10
	s_mov_b32 s11, s10
	s_addc_u32 s3, s3, s10
	s_xor_b64 s[2:3], s[2:3], s[10:11]
	v_readfirstlane_b32 s15, v1
	s_mul_i32 s14, s2, s12
	s_mul_hi_u32 s16, s2, s15
	s_mul_hi_u32 s13, s2, s12
	s_add_u32 s14, s16, s14
	s_addc_u32 s13, 0, s13
	s_mul_hi_u32 s17, s3, s15
	s_mul_i32 s15, s3, s15
	s_add_u32 s14, s14, s15
	s_mul_hi_u32 s16, s3, s12
	s_addc_u32 s13, s13, s17
	s_addc_u32 s14, s16, 0
	s_mul_i32 s12, s3, s12
	s_add_u32 s12, s13, s12
	s_addc_u32 s13, 0, s14
	s_add_u32 s14, s12, 1
	s_addc_u32 s15, s13, 0
	s_add_u32 s16, s12, 2
	s_mul_i32 s18, s62, s13
	s_mul_hi_u32 s19, s62, s12
	s_addc_u32 s17, s13, 0
	s_add_i32 s19, s19, s18
	s_mul_i32 s18, s62, s12
	v_mov_b32_e32 v1, s18
	v_sub_co_u32_e32 v1, vcc, s2, v1
	s_cmp_lg_u64 vcc, 0
	s_subb_u32 s2, s3, s19
	v_subrev_co_u32_e32 v4, vcc, s62, v1
	s_cmp_lg_u64 vcc, 0
	s_subb_u32 s3, s2, 0
	v_readfirstlane_b32 s18, v4
	s_cmp_ge_u32 s18, s62
	s_cselect_b32 s18, -1, 0
	s_cmp_eq_u32 s3, 0
	s_cselect_b32 s3, s18, -1
	s_cmp_lg_u32 s3, 0
	s_cselect_b32 s3, s17, s15
	v_readfirstlane_b32 s15, v1
	s_cselect_b32 s14, s16, s14
	s_cmp_ge_u32 s15, s62
	s_cselect_b32 s15, -1, 0
	s_cmp_eq_u32 s2, 0
	s_cselect_b32 s2, s15, -1
	s_cmp_lg_u32 s2, 0
	s_cselect_b32 s3, s3, s13
	s_cselect_b32 s2, s14, s12
	s_xor_b64 s[2:3], s[2:3], s[10:11]
	s_sub_u32 s2, s2, s10
	s_subb_u32 s3, s3, s10
	s_cbranch_execnz .LBB7_5
.LBB7_4:
	v_cvt_f32_u32_e32 v1, s62
	s_sub_i32 s0, 0, s62
	s_mov_b32 s3, 0
	v_rcp_iflag_f32_e32 v1, v1
	v_mul_f32_e32 v1, 0x4f7ffffe, v1
	v_cvt_u32_f32_e32 v1, v1
	v_readfirstlane_b32 s1, v1
	s_mul_i32 s0, s0, s1
	s_mul_hi_u32 s0, s1, s0
	s_add_i32 s1, s1, s0
	s_mul_hi_u32 s0, s9, s1
	s_mul_i32 s2, s0, s62
	s_sub_i32 s2, s9, s2
	s_add_i32 s1, s0, 1
	s_sub_i32 s9, s2, s62
	s_cmp_ge_u32 s2, s62
	s_cselect_b32 s0, s1, s0
	s_cselect_b32 s2, s9, s2
	s_add_i32 s1, s0, 1
	s_cmp_ge_u32 s2, s62
	s_cselect_b32 s2, s1, s0
.LBB7_5:
	v_mov_b32_e32 v1, 0
	v_mov_b32_e32 v4, s6
	v_mad_u64_u32 v[14:15], s[0:1], s8, v4, v[0:1]
	s_add_u32 s0, s2, 1
	s_addc_u32 s1, s3, 0
	s_mul_hi_u32 s2, s7, s8
	s_mul_i32 s1, s33, s1
	s_mul_hi_u32 s3, s33, s0
	s_add_i32 s1, s3, s1
	s_mul_i32 s2, s2, s0
	s_add_i32 s1, s1, s2
	s_mul_i32 s0, s33, s0
	s_lshl_b64 s[26:27], s[0:1], 2
	v_cmp_gt_i64_e32 vcc, s[26:27], v[14:15]
	s_and_saveexec_b64 s[0:1], vcc
	s_cbranch_execz .LBB7_82
; %bb.6:
	s_mov_b32 s0, 0x5384540f
	v_mov_b32_e32 v0, v13
	v_add_co_u32_e32 v22, vcc, s0, v12
	s_mov_b32 s0, 0x646e171e
	v_add_co_u32_e32 v23, vcc, s0, v0
	s_mov_b32 s0, 0x1715609d
	;; [unrolled: 2-line block ×6, first 2 shown]
	v_alignbit_b32 v29, v3, v2, 2
	s_mov_b32 s64, 0xd2511f53
	v_add_co_u32_e32 v28, vcc, s0, v12
	v_mad_u64_u32 v[4:5], s[0:1], v29, s64, 0
	v_xor_b32_e32 v1, v5, v13
	v_xor_b32_e32 v1, v1, v15
	s_mov_b32 s65, 0xcd9e8d57
	v_mad_u64_u32 v[6:7], s[0:1], v1, s65, 0
	v_xor_b32_e32 v1, v28, v7
	v_mad_u64_u32 v[8:9], s[0:1], v14, s65, 0
	v_and_b32_e32 v18, 3, v2
	v_xor_b32_e32 v1, v1, v8
	v_xor_b32_e32 v2, v12, v9
	v_lshrrev_b32_e32 v30, 2, v3
	v_mad_u64_u32 v[10:11], s[0:1], v1, s64, 0
	v_xor_b32_e32 v2, v2, v30
	v_xor_b32_e32 v1, v27, v11
	v_mad_u64_u32 v[2:3], s[0:1], v2, s64, 0
	v_xor_b32_e32 v1, v1, v2
	v_mad_u64_u32 v[8:9], s[0:1], v1, s65, 0
	s_mov_b32 s0, 0xbb67ae85
	v_add_co_u32_e32 v31, vcc, s0, v0
	v_xor_b32_e32 v2, v31, v3
	v_xor_b32_e32 v2, v2, v4
	v_xor_b32_e32 v1, v26, v9
	v_mad_u64_u32 v[2:3], s[0:1], v2, s65, 0
	v_xor_b32_e32 v1, v1, v2
	v_mad_u64_u32 v[4:5], s[0:1], v1, s64, 0
	s_mov_b32 s0, 0x3c6ef372
	v_add_co_u32_e32 v32, vcc, s0, v12
	v_xor_b32_e32 v2, v32, v3
	;; [unrolled: 8-line block ×6, first 2 shown]
	v_add_co_u32_e32 v21, vcc, 0xdb3d7428, v0
	v_xor_b32_e32 v2, v2, v6
	v_xor_b32_e32 v1, v21, v5
	v_mad_u64_u32 v[2:3], s[0:1], v2, s64, 0
	v_xor_b32_e32 v1, v1, v2
	v_mad_u64_u32 v[6:7], s[0:1], v1, s65, 0
	s_mov_b32 s0, 0x1fd5c5a3
	v_add_co_u32_e32 v37, vcc, s0, v0
	v_xor_b32_e32 v0, v37, v3
	v_xor_b32_e32 v0, v0, v10
	v_mad_u64_u32 v[0:1], s[0:1], v0, s65, 0
	s_mov_b32 s0, 0xf1bbcdc8
	s_load_dwordx8 s[8:15], s[4:5], 0x30
	v_add_co_u32_e32 v38, vcc, s0, v12
	v_xor_b32_e32 v1, v38, v1
	v_xor_b32_e32 v1, v1, v8
	s_add_u32 s34, s4, 48
	v_mad_u64_u32 v[8:9], s[0:1], v1, s64, 0
	s_addc_u32 s35, s5, 0
	s_waitcnt lgkmcnt(0)
	s_add_i32 s0, s8, -1
	s_cmp_gt_u32 s0, 1
	s_cselect_b64 s[40:41], -1, 0
	s_cmp_lg_u32 s8, 0
	s_cselect_b64 s[42:43], -1, 0
	s_add_u32 s44, s4, 0xf4
	s_addc_u32 s45, s5, 0
	s_min_u32 s1, s0, 15
	s_cmp_gt_u32 s8, 1
	s_cselect_b64 s[46:47], -1, 0
	s_load_dwordx2 s[48:49], s[4:5], 0xf4
	s_load_dwordx2 s[50:51], s[4:5], 0x138
	s_load_dwordx4 s[28:31], s[4:5], 0x140
	s_add_i32 s1, s1, 1
	s_mov_b32 s8, s13
	s_lshl_b32 s13, s33, 1
	s_and_b32 s67, s1, 3
	s_cmp_lg_u32 s0, 2
	s_cselect_b64 s[52:53], -1, 0
	s_and_b32 s68, s1, 28
	s_mov_b32 s63, 0
	v_add_u32_e32 v19, 0x8ff34781, v12
	v_add_u32_e32 v20, 0x96a522ad, v13
	v_xor_b32_e32 v0, v7, v0
	v_xor_b32_e32 v1, v9, v4
	s_cmp_lg_u32 s67, 0
	v_xor_b32_e32 v0, v19, v0
	v_xor_b32_e32 v2, v20, v1
	v_mov_b32_e32 v1, v6
	v_mov_b32_e32 v3, v8
	s_mov_b32 s15, s63
	s_waitcnt lgkmcnt(0)
	s_mul_i32 s31, s33, 3
	s_mov_b32 s66, s63
	s_mov_b64 s[54:55], 0
	s_cselect_b64 s[56:57], -1, 0
	v_mov_b32_e32 v39, v14
	v_mov_b32_e32 v40, v15
	s_branch .LBB7_9
.LBB7_7:                                ;   in Loop: Header=BB7_9 Depth=1
	v_cvt_f32_u32_e32 v0, v3
	v_mov_b32_e32 v1, 0x2f800000
	v_mov_b32_e32 v2, s29
	v_fmac_f32_e32 v1, 0x2f800000, v0
	v_fma_f32 v0, s28, v1, v2
	v_cmp_eq_f32_e32 vcc, s30, v0
	v_cndmask_b32_e32 v0, v0, v2, vcc
	global_store_dword v8, v0, s[50:51]
.LBB7_8:                                ;   in Loop: Header=BB7_9 Depth=1
	s_or_b64 exec, exec, s[36:37]
	v_add_co_u32_e32 v14, vcc, s62, v14
	v_addc_co_u32_e32 v15, vcc, 0, v15, vcc
	v_mov_b32_e32 v7, v16
	v_cmp_le_i64_e32 vcc, s[26:27], v[14:15]
	v_pk_mov_b32 v[0:1], v[4:5], v[4:5] op_sel:[0,1]
	s_or_b64 s[54:55], vcc, s[54:55]
	v_pk_mov_b32 v[2:3], v[6:7], v[6:7] op_sel:[0,1]
	s_barrier
	s_andn2_b64 exec, exec, s[54:55]
	s_cbranch_execz .LBB7_82
.LBB7_9:                                ; =>This Loop Header: Depth=1
                                        ;     Child Loop BB7_24 Depth 2
                                        ;     Child Loop BB7_30 Depth 2
	;; [unrolled: 1-line block ×8, first 2 shown]
	v_add_co_u32_e32 v29, vcc, 1, v29
	v_cndmask_b32_e64 v4, 0, 1, vcc
	v_addc_co_u32_e32 v30, vcc, 0, v30, vcc
	v_cmp_eq_u32_e32 vcc, 0, v30
	v_cndmask_b32_e32 v4, 0, v4, vcc
	v_add_u32_e32 v39, v4, v39
	v_cmp_eq_u32_e32 vcc, 0, v39
	v_cndmask_b32_e32 v4, 0, v4, vcc
	v_add_u32_e32 v40, v4, v40
	v_mad_u64_u32 v[4:5], s[0:1], v29, s64, 0
	v_mad_u64_u32 v[6:7], s[0:1], v39, s65, 0
	v_xor_b32_e32 v5, v5, v13
	v_xor_b32_e32 v7, v7, v12
	v_xor_b32_e32 v5, v40, v5
	v_xor_b32_e32 v7, v30, v7
	v_mad_u64_u32 v[10:11], s[0:1], v5, s65, 0
	v_mad_u64_u32 v[8:9], s[0:1], v7, s64, 0
	v_xor_b32_e32 v5, v28, v11
	v_xor_b32_e32 v5, v5, v6
	v_xor_b32_e32 v6, v31, v9
	v_xor_b32_e32 v6, v6, v4
	;; [unrolled: 6-line block ×10, first 2 shown]
	v_mov_b32_e32 v5, v10
	v_mov_b32_e32 v6, v11
	v_cmp_lt_i32_e32 vcc, 1, v18
	s_and_saveexec_b64 s[0:1], vcc
	s_xor_b64 s[0:1], exec, s[0:1]
	s_cbranch_execz .LBB7_15
; %bb.10:                               ;   in Loop: Header=BB7_9 Depth=1
	v_cmp_lt_i32_e32 vcc, 2, v18
	s_and_saveexec_b64 s[2:3], vcc
	s_xor_b64 s[2:3], exec, s[2:3]
; %bb.11:                               ;   in Loop: Header=BB7_9 Depth=1
	v_mov_b32_e32 v8, v3
	v_mov_b32_e32 v9, v4
	v_pk_mov_b32 v[0:1], v[8:9], v[8:9] op_sel:[0,1]
	v_pk_mov_b32 v[2:3], v[10:11], v[10:11] op_sel:[0,1]
                                        ; implicit-def: $vgpr10_vgpr11
; %bb.12:                               ;   in Loop: Header=BB7_9 Depth=1
	s_andn2_saveexec_b64 s[2:3], s[2:3]
; %bb.13:                               ;   in Loop: Header=BB7_9 Depth=1
	v_mov_b32_e32 v0, v2
	v_mov_b32_e32 v1, v3
	;; [unrolled: 1-line block ×4, first 2 shown]
; %bb.14:                               ;   in Loop: Header=BB7_9 Depth=1
	s_or_b64 exec, exec, s[2:3]
.LBB7_15:                               ;   in Loop: Header=BB7_9 Depth=1
	s_andn2_saveexec_b64 s[0:1], s[0:1]
	s_cbranch_execz .LBB7_19
; %bb.16:                               ;   in Loop: Header=BB7_9 Depth=1
	v_cmp_eq_u32_e32 vcc, 1, v18
	s_and_saveexec_b64 s[2:3], vcc
; %bb.17:                               ;   in Loop: Header=BB7_9 Depth=1
	v_mov_b32_e32 v0, v1
	v_mov_b32_e32 v1, v2
	;; [unrolled: 1-line block ×4, first 2 shown]
; %bb.18:                               ;   in Loop: Header=BB7_9 Depth=1
	s_or_b64 exec, exec, s[2:3]
.LBB7_19:                               ;   in Loop: Header=BB7_9 Depth=1
	s_or_b64 exec, exec, s[0:1]
	v_cndmask_b32_e64 v7, 0, 1, s[40:41]
	v_cmp_gt_i64_e32 vcc, s[24:25], v[14:15]
	v_cmp_ne_u32_e64 s[0:1], 1, v7
	s_and_saveexec_b64 s[2:3], vcc
	s_cbranch_execz .LBB7_35
; %bb.20:                               ;   in Loop: Header=BB7_9 Depth=1
	s_and_b64 vcc, exec, s[0:1]
	s_cbranch_vccnz .LBB7_26
; %bb.21:                               ;   in Loop: Header=BB7_9 Depth=1
	s_andn2_b64 vcc, exec, s[42:43]
	s_cbranch_vccnz .LBB7_27
; %bb.22:                               ;   in Loop: Header=BB7_9 Depth=1
	s_mov_b32 s6, 0
	s_andn2_b64 vcc, exec, s[52:53]
	v_mov_b32_e32 v8, 0
	s_cbranch_vccnz .LBB7_28
; %bb.23:                               ;   in Loop: Header=BB7_9 Depth=1
	s_mov_b32 s69, 0
	v_mov_b32_e32 v8, 0
	s_mov_b64 s[58:59], s[34:35]
	s_mov_b64 s[60:61], s[44:45]
	v_mov_b32_e32 v7, v14
.LBB7_24:                               ;   Parent Loop BB7_9 Depth=1
                                        ; =>  This Inner Loop Header: Depth=2
	s_load_dwordx8 s[16:23], s[58:59], 0x4
	s_load_dwordx4 s[4:7], s[58:59], 0x24
	s_load_dwordx4 s[36:39], s[60:61], 0x0
	s_add_u32 s58, s58, 48
	s_addc_u32 s59, s59, 0
	s_waitcnt lgkmcnt(0)
	v_mul_hi_u32 v9, s17, v7
	v_add_u32_e32 v9, v7, v9
	v_lshrrev_b32_e32 v9, s18, v9
	v_mul_lo_u32 v10, v9, s16
	v_mul_hi_u32 v11, s20, v9
	v_sub_u32_e32 v7, v7, v10
	v_add_u32_e32 v10, v9, v11
	v_lshrrev_b32_e32 v10, s21, v10
	v_mul_lo_u32 v11, v10, s19
	v_mul_hi_u32 v17, s23, v10
	v_sub_u32_e32 v9, v9, v11
	v_add_u32_e32 v11, v10, v17
	v_mul_lo_u32 v7, v7, s36
	v_mul_lo_u32 v9, v9, s37
	v_lshrrev_b32_e32 v11, s4, v11
	v_add3_u32 v8, v7, v8, v9
	v_mul_lo_u32 v7, v11, s22
	v_mul_hi_u32 v9, s6, v11
	v_sub_u32_e32 v7, v10, v7
	v_add_u32_e32 v9, v11, v9
	v_mul_lo_u32 v10, v7, s38
	v_lshrrev_b32_e32 v7, s7, v9
	s_add_i32 s69, s69, 4
	v_mul_lo_u32 v9, v7, s5
	s_add_u32 s60, s60, 16
	v_sub_u32_e32 v9, v11, v9
	s_addc_u32 s61, s61, 0
	v_mul_lo_u32 v9, v9, s39
	s_cmp_lg_u32 s68, s69
	v_add3_u32 v8, v10, v8, v9
	s_cbranch_scc1 .LBB7_24
; %bb.25:                               ;   in Loop: Header=BB7_9 Depth=1
	s_mov_b32 s6, s68
	s_andn2_b64 vcc, exec, s[56:57]
	s_cbranch_vccz .LBB7_29
	s_branch .LBB7_31
.LBB7_26:                               ;   in Loop: Header=BB7_9 Depth=1
                                        ; implicit-def: $vgpr8
	s_branch .LBB7_32
.LBB7_27:                               ;   in Loop: Header=BB7_9 Depth=1
	v_mov_b32_e32 v8, 0
	s_branch .LBB7_31
.LBB7_28:                               ;   in Loop: Header=BB7_9 Depth=1
	v_mov_b32_e32 v7, v14
	s_andn2_b64 vcc, exec, s[56:57]
	s_cbranch_vccnz .LBB7_31
.LBB7_29:                               ;   in Loop: Header=BB7_9 Depth=1
	s_lshl_b32 s4, s6, 2
	s_add_u32 s4, s44, s4
	s_addc_u32 s5, s45, 0
	s_mul_i32 s6, s6, 12
	s_add_u32 s6, s34, s6
	s_addc_u32 s7, s35, 0
	s_mov_b32 s16, s67
.LBB7_30:                               ;   Parent Loop BB7_9 Depth=1
                                        ; =>  This Inner Loop Header: Depth=2
	s_load_dwordx2 s[18:19], s[6:7], 0x4
	s_load_dword s17, s[6:7], 0xc
	s_load_dword s20, s[4:5], 0x0
	s_add_u32 s6, s6, 12
	s_addc_u32 s7, s7, 0
	s_waitcnt lgkmcnt(0)
	v_mul_hi_u32 v9, s19, v7
	v_add_u32_e32 v9, v7, v9
	v_lshrrev_b32_e32 v9, s17, v9
	s_add_u32 s4, s4, 4
	v_mul_lo_u32 v10, v9, s18
	s_addc_u32 s5, s5, 0
	s_add_i32 s16, s16, -1
	v_sub_u32_e32 v10, v7, v10
	s_cmp_lg_u32 s16, 0
	v_mov_b32_e32 v7, v9
	v_mad_u64_u32 v[8:9], s[18:19], v10, s20, v[8:9]
	s_cbranch_scc1 .LBB7_30
.LBB7_31:                               ;   in Loop: Header=BB7_9 Depth=1
	s_cbranch_execnz .LBB7_34
.LBB7_32:                               ;   in Loop: Header=BB7_9 Depth=1
	v_mul_hi_u32 v7, v14, s10
	v_add_u32_e32 v7, v7, v14
	v_lshrrev_b32_e32 v7, s11, v7
	v_mul_lo_u32 v8, v7, s9
	v_sub_u32_e32 v8, v14, v8
	s_andn2_b64 vcc, exec, s[46:47]
	v_mul_lo_u32 v8, v8, s48
	s_cbranch_vccnz .LBB7_34
; %bb.33:                               ;   in Loop: Header=BB7_9 Depth=1
	v_mul_hi_u32 v9, s8, v7
	v_add_u32_e32 v9, v7, v9
	v_lshrrev_b32_e32 v9, s14, v9
	v_mul_lo_u32 v9, v9, s12
	v_sub_u32_e32 v7, v7, v9
	v_mad_u64_u32 v[8:9], s[4:5], v7, s49, v[8:9]
.LBB7_34:                               ;   in Loop: Header=BB7_9 Depth=1
	v_cvt_f32_u32_e32 v0, v0
	v_mov_b32_e32 v7, 0x2f800000
	v_mov_b32_e32 v9, s29
	v_fmac_f32_e32 v7, 0x2f800000, v0
	v_fma_f32 v0, s28, v7, v9
	v_cmp_eq_f32_e32 vcc, s30, v0
	v_cndmask_b32_e32 v0, v0, v9, vcc
	global_store_dword v8, v0, s[50:51]
.LBB7_35:                               ;   in Loop: Header=BB7_9 Depth=1
	s_or_b64 exec, exec, s[2:3]
	v_mov_b32_e32 v0, s63
	v_add_co_u32_e32 v8, vcc, s33, v14
	v_addc_co_u32_e32 v9, vcc, v15, v0, vcc
	v_cmp_gt_i64_e32 vcc, s[24:25], v[8:9]
	s_and_saveexec_b64 s[2:3], vcc
	s_cbranch_execz .LBB7_51
; %bb.36:                               ;   in Loop: Header=BB7_9 Depth=1
	s_and_b64 vcc, exec, s[0:1]
	s_cbranch_vccnz .LBB7_42
; %bb.37:                               ;   in Loop: Header=BB7_9 Depth=1
	s_andn2_b64 vcc, exec, s[42:43]
	s_cbranch_vccnz .LBB7_43
; %bb.38:                               ;   in Loop: Header=BB7_9 Depth=1
	s_mov_b32 s6, 0
	s_andn2_b64 vcc, exec, s[52:53]
	v_mov_b32_e32 v10, 0
	s_cbranch_vccnz .LBB7_44
; %bb.39:                               ;   in Loop: Header=BB7_9 Depth=1
	s_mov_b32 s69, 0
	v_mov_b32_e32 v10, 0
	s_mov_b64 s[58:59], s[34:35]
	s_mov_b64 s[60:61], s[44:45]
	v_mov_b32_e32 v0, v8
.LBB7_40:                               ;   Parent Loop BB7_9 Depth=1
                                        ; =>  This Inner Loop Header: Depth=2
	s_load_dwordx8 s[16:23], s[58:59], 0x4
	s_load_dwordx4 s[4:7], s[58:59], 0x24
	s_load_dwordx4 s[36:39], s[60:61], 0x0
	s_add_u32 s58, s58, 48
	s_addc_u32 s59, s59, 0
	s_waitcnt lgkmcnt(0)
	v_mul_hi_u32 v7, s17, v0
	v_add_u32_e32 v7, v0, v7
	v_lshrrev_b32_e32 v7, s18, v7
	v_mul_lo_u32 v9, v7, s16
	v_mul_hi_u32 v11, s20, v7
	v_sub_u32_e32 v0, v0, v9
	v_add_u32_e32 v9, v7, v11
	v_lshrrev_b32_e32 v9, s21, v9
	v_mul_lo_u32 v11, v9, s19
	v_mul_hi_u32 v17, s23, v9
	v_sub_u32_e32 v7, v7, v11
	v_add_u32_e32 v11, v9, v17
	v_mul_lo_u32 v0, v0, s36
	v_mul_lo_u32 v7, v7, s37
	v_lshrrev_b32_e32 v11, s4, v11
	v_add3_u32 v7, v0, v10, v7
	v_mul_lo_u32 v0, v11, s22
	v_mul_hi_u32 v10, s6, v11
	v_sub_u32_e32 v0, v9, v0
	v_add_u32_e32 v9, v11, v10
	v_mul_lo_u32 v10, v0, s38
	v_lshrrev_b32_e32 v0, s7, v9
	s_add_i32 s69, s69, 4
	v_mul_lo_u32 v9, v0, s5
	s_add_u32 s60, s60, 16
	v_sub_u32_e32 v9, v11, v9
	s_addc_u32 s61, s61, 0
	v_mul_lo_u32 v9, v9, s39
	s_cmp_eq_u32 s68, s69
	v_add3_u32 v10, v10, v7, v9
	s_cbranch_scc0 .LBB7_40
; %bb.41:                               ;   in Loop: Header=BB7_9 Depth=1
	s_mov_b32 s6, s68
	s_andn2_b64 vcc, exec, s[56:57]
	s_cbranch_vccz .LBB7_45
	s_branch .LBB7_47
.LBB7_42:                               ;   in Loop: Header=BB7_9 Depth=1
                                        ; implicit-def: $vgpr10
	s_branch .LBB7_48
.LBB7_43:                               ;   in Loop: Header=BB7_9 Depth=1
	v_mov_b32_e32 v10, 0
	s_branch .LBB7_47
.LBB7_44:                               ;   in Loop: Header=BB7_9 Depth=1
	v_mov_b32_e32 v0, v8
	s_andn2_b64 vcc, exec, s[56:57]
	s_cbranch_vccnz .LBB7_47
.LBB7_45:                               ;   in Loop: Header=BB7_9 Depth=1
	s_lshl_b32 s4, s6, 2
	s_add_u32 s4, s44, s4
	s_addc_u32 s5, s45, 0
	s_mul_i32 s6, s6, 12
	s_add_u32 s6, s34, s6
	s_addc_u32 s7, s35, 0
	s_mov_b32 s16, s67
.LBB7_46:                               ;   Parent Loop BB7_9 Depth=1
                                        ; =>  This Inner Loop Header: Depth=2
	s_load_dwordx2 s[18:19], s[6:7], 0x4
	s_load_dword s17, s[6:7], 0xc
	s_load_dword s20, s[4:5], 0x0
	s_add_u32 s6, s6, 12
	s_addc_u32 s7, s7, 0
	s_waitcnt lgkmcnt(0)
	v_mul_hi_u32 v7, s19, v0
	v_add_u32_e32 v7, v0, v7
	v_lshrrev_b32_e32 v7, s17, v7
	s_add_u32 s4, s4, 4
	v_mul_lo_u32 v9, v7, s18
	s_addc_u32 s5, s5, 0
	s_add_i32 s16, s16, -1
	v_sub_u32_e32 v9, v0, v9
	s_cmp_lg_u32 s16, 0
	v_mov_b32_e32 v0, v7
	v_mad_u64_u32 v[10:11], s[18:19], v9, s20, v[10:11]
	s_cbranch_scc1 .LBB7_46
.LBB7_47:                               ;   in Loop: Header=BB7_9 Depth=1
	s_cbranch_execnz .LBB7_50
.LBB7_48:                               ;   in Loop: Header=BB7_9 Depth=1
	v_mul_hi_u32 v0, v8, s10
	v_add_u32_e32 v0, v0, v8
	v_lshrrev_b32_e32 v0, s11, v0
	v_mul_lo_u32 v7, v0, s9
	v_sub_u32_e32 v7, v8, v7
	s_andn2_b64 vcc, exec, s[46:47]
	v_mul_lo_u32 v10, v7, s48
	s_cbranch_vccnz .LBB7_50
; %bb.49:                               ;   in Loop: Header=BB7_9 Depth=1
	v_mul_hi_u32 v7, s8, v0
	v_add_u32_e32 v7, v0, v7
	v_lshrrev_b32_e32 v7, s14, v7
	v_mul_lo_u32 v7, v7, s12
	v_sub_u32_e32 v0, v0, v7
	v_mad_u64_u32 v[10:11], s[4:5], v0, s49, v[10:11]
.LBB7_50:                               ;   in Loop: Header=BB7_9 Depth=1
	v_cvt_f32_u32_e32 v0, v1
	v_mov_b32_e32 v1, 0x2f800000
	v_mov_b32_e32 v7, s29
	v_fmac_f32_e32 v1, 0x2f800000, v0
	v_fma_f32 v0, s28, v1, v7
	v_cmp_eq_f32_e32 vcc, s30, v0
	v_cndmask_b32_e32 v0, v0, v7, vcc
	global_store_dword v10, v0, s[50:51]
.LBB7_51:                               ;   in Loop: Header=BB7_9 Depth=1
	s_or_b64 exec, exec, s[2:3]
	v_mov_b32_e32 v1, s15
	v_add_co_u32_e32 v0, vcc, s13, v14
	v_addc_co_u32_e32 v1, vcc, v15, v1, vcc
	v_cmp_gt_i64_e32 vcc, s[24:25], v[0:1]
	s_and_saveexec_b64 s[2:3], vcc
	s_cbranch_execz .LBB7_67
; %bb.52:                               ;   in Loop: Header=BB7_9 Depth=1
	s_and_b64 vcc, exec, s[0:1]
	s_cbranch_vccnz .LBB7_58
; %bb.53:                               ;   in Loop: Header=BB7_9 Depth=1
	s_andn2_b64 vcc, exec, s[42:43]
	s_cbranch_vccnz .LBB7_59
; %bb.54:                               ;   in Loop: Header=BB7_9 Depth=1
	s_mov_b32 s6, 0
	s_andn2_b64 vcc, exec, s[52:53]
	v_mov_b32_e32 v8, 0
	s_cbranch_vccnz .LBB7_60
; %bb.55:                               ;   in Loop: Header=BB7_9 Depth=1
	s_mov_b32 s69, 0
	v_mov_b32_e32 v8, 0
	s_mov_b64 s[58:59], s[34:35]
	s_mov_b64 s[60:61], s[44:45]
	v_mov_b32_e32 v1, v0
.LBB7_56:                               ;   Parent Loop BB7_9 Depth=1
                                        ; =>  This Inner Loop Header: Depth=2
	s_load_dwordx8 s[16:23], s[58:59], 0x4
	s_load_dwordx4 s[4:7], s[58:59], 0x24
	s_load_dwordx4 s[36:39], s[60:61], 0x0
	s_add_u32 s58, s58, 48
	s_addc_u32 s59, s59, 0
	s_waitcnt lgkmcnt(0)
	v_mul_hi_u32 v7, s17, v1
	v_add_u32_e32 v7, v1, v7
	v_lshrrev_b32_e32 v7, s18, v7
	v_mul_lo_u32 v9, v7, s16
	v_mul_hi_u32 v10, s20, v7
	v_sub_u32_e32 v1, v1, v9
	v_add_u32_e32 v9, v7, v10
	v_lshrrev_b32_e32 v9, s21, v9
	v_mul_lo_u32 v10, v9, s19
	v_mul_hi_u32 v11, s23, v9
	v_sub_u32_e32 v7, v7, v10
	v_add_u32_e32 v10, v9, v11
	v_mul_lo_u32 v1, v1, s36
	v_mul_lo_u32 v7, v7, s37
	v_lshrrev_b32_e32 v10, s4, v10
	v_add3_u32 v7, v1, v8, v7
	v_mul_lo_u32 v1, v10, s22
	v_mul_hi_u32 v8, s6, v10
	v_sub_u32_e32 v1, v9, v1
	v_add_u32_e32 v8, v10, v8
	v_mul_lo_u32 v9, v1, s38
	v_lshrrev_b32_e32 v1, s7, v8
	s_add_i32 s69, s69, 4
	v_mul_lo_u32 v8, v1, s5
	s_add_u32 s60, s60, 16
	v_sub_u32_e32 v8, v10, v8
	s_addc_u32 s61, s61, 0
	v_mul_lo_u32 v8, v8, s39
	s_cmp_eq_u32 s68, s69
	v_add3_u32 v8, v9, v7, v8
	s_cbranch_scc0 .LBB7_56
; %bb.57:                               ;   in Loop: Header=BB7_9 Depth=1
	s_mov_b32 s6, s68
	s_andn2_b64 vcc, exec, s[56:57]
	s_cbranch_vccz .LBB7_61
	s_branch .LBB7_63
.LBB7_58:                               ;   in Loop: Header=BB7_9 Depth=1
                                        ; implicit-def: $vgpr8
	s_branch .LBB7_64
.LBB7_59:                               ;   in Loop: Header=BB7_9 Depth=1
	v_mov_b32_e32 v8, 0
	s_branch .LBB7_63
.LBB7_60:                               ;   in Loop: Header=BB7_9 Depth=1
	v_mov_b32_e32 v1, v0
	s_andn2_b64 vcc, exec, s[56:57]
	s_cbranch_vccnz .LBB7_63
.LBB7_61:                               ;   in Loop: Header=BB7_9 Depth=1
	s_lshl_b32 s4, s6, 2
	s_add_u32 s4, s44, s4
	s_addc_u32 s5, s45, 0
	s_mul_i32 s6, s6, 12
	s_add_u32 s6, s34, s6
	s_addc_u32 s7, s35, 0
	s_mov_b32 s16, s67
.LBB7_62:                               ;   Parent Loop BB7_9 Depth=1
                                        ; =>  This Inner Loop Header: Depth=2
	s_load_dwordx2 s[18:19], s[6:7], 0x4
	s_load_dword s17, s[6:7], 0xc
	s_load_dword s20, s[4:5], 0x0
	s_add_u32 s6, s6, 12
	s_addc_u32 s7, s7, 0
	s_waitcnt lgkmcnt(0)
	v_mul_hi_u32 v7, s19, v1
	v_add_u32_e32 v7, v1, v7
	v_lshrrev_b32_e32 v7, s17, v7
	s_add_u32 s4, s4, 4
	v_mul_lo_u32 v9, v7, s18
	s_addc_u32 s5, s5, 0
	s_add_i32 s16, s16, -1
	v_sub_u32_e32 v9, v1, v9
	s_cmp_lg_u32 s16, 0
	v_mov_b32_e32 v1, v7
	v_mad_u64_u32 v[8:9], s[18:19], v9, s20, v[8:9]
	s_cbranch_scc1 .LBB7_62
.LBB7_63:                               ;   in Loop: Header=BB7_9 Depth=1
	s_cbranch_execnz .LBB7_66
.LBB7_64:                               ;   in Loop: Header=BB7_9 Depth=1
	v_mul_hi_u32 v1, v0, s10
	v_add_u32_e32 v1, v1, v0
	v_lshrrev_b32_e32 v1, s11, v1
	v_mul_lo_u32 v7, v1, s9
	v_sub_u32_e32 v0, v0, v7
	s_andn2_b64 vcc, exec, s[46:47]
	v_mul_lo_u32 v8, v0, s48
	s_cbranch_vccnz .LBB7_66
; %bb.65:                               ;   in Loop: Header=BB7_9 Depth=1
	v_mul_hi_u32 v0, s8, v1
	v_add_u32_e32 v0, v1, v0
	v_lshrrev_b32_e32 v0, s14, v0
	v_mul_lo_u32 v0, v0, s12
	v_sub_u32_e32 v0, v1, v0
	v_mad_u64_u32 v[8:9], s[4:5], v0, s49, v[8:9]
.LBB7_66:                               ;   in Loop: Header=BB7_9 Depth=1
	v_cvt_f32_u32_e32 v0, v2
	v_mov_b32_e32 v1, 0x2f800000
	v_mov_b32_e32 v2, s29
	v_fmac_f32_e32 v1, 0x2f800000, v0
	v_fma_f32 v0, s28, v1, v2
	v_cmp_eq_f32_e32 vcc, s30, v0
	v_cndmask_b32_e32 v0, v0, v2, vcc
	global_store_dword v8, v0, s[50:51]
.LBB7_67:                               ;   in Loop: Header=BB7_9 Depth=1
	s_or_b64 exec, exec, s[2:3]
	v_mov_b32_e32 v1, s66
	v_add_co_u32_e32 v0, vcc, s31, v14
	v_addc_co_u32_e32 v1, vcc, v15, v1, vcc
	v_cmp_gt_i64_e32 vcc, s[24:25], v[0:1]
	s_and_saveexec_b64 s[36:37], vcc
	s_cbranch_execz .LBB7_8
; %bb.68:                               ;   in Loop: Header=BB7_9 Depth=1
	s_and_b64 vcc, exec, s[0:1]
	s_cbranch_vccnz .LBB7_74
; %bb.69:                               ;   in Loop: Header=BB7_9 Depth=1
	s_andn2_b64 vcc, exec, s[42:43]
	s_cbranch_vccnz .LBB7_75
; %bb.70:                               ;   in Loop: Header=BB7_9 Depth=1
	s_mov_b32 s2, 0
	s_andn2_b64 vcc, exec, s[52:53]
	v_mov_b32_e32 v8, 0
	s_cbranch_vccnz .LBB7_76
; %bb.71:                               ;   in Loop: Header=BB7_9 Depth=1
	s_mov_b32 s60, 0
	v_mov_b32_e32 v8, 0
	s_mov_b64 s[38:39], s[34:35]
	s_mov_b64 s[58:59], s[44:45]
	v_mov_b32_e32 v1, v0
.LBB7_72:                               ;   Parent Loop BB7_9 Depth=1
                                        ; =>  This Inner Loop Header: Depth=2
	s_load_dwordx8 s[0:7], s[38:39], 0x4
	s_load_dwordx4 s[16:19], s[38:39], 0x24
	s_load_dwordx4 s[20:23], s[58:59], 0x0
	s_add_u32 s38, s38, 48
	s_addc_u32 s39, s39, 0
	s_waitcnt lgkmcnt(0)
	v_mul_hi_u32 v2, s1, v1
	v_add_u32_e32 v2, v1, v2
	v_lshrrev_b32_e32 v2, s2, v2
	v_mul_lo_u32 v7, v2, s0
	v_mul_hi_u32 v9, s4, v2
	v_sub_u32_e32 v1, v1, v7
	v_add_u32_e32 v7, v2, v9
	v_lshrrev_b32_e32 v7, s5, v7
	v_mul_lo_u32 v9, v7, s3
	v_mul_hi_u32 v10, s7, v7
	v_sub_u32_e32 v2, v2, v9
	v_add_u32_e32 v9, v7, v10
	v_mul_lo_u32 v1, v1, s20
	v_mul_lo_u32 v2, v2, s21
	v_lshrrev_b32_e32 v9, s16, v9
	v_add3_u32 v2, v1, v8, v2
	v_mul_lo_u32 v1, v9, s6
	v_mul_hi_u32 v8, s18, v9
	v_sub_u32_e32 v1, v7, v1
	v_add_u32_e32 v7, v9, v8
	v_mul_lo_u32 v8, v1, s22
	v_lshrrev_b32_e32 v1, s19, v7
	s_add_i32 s60, s60, 4
	v_mul_lo_u32 v7, v1, s17
	s_add_u32 s58, s58, 16
	v_sub_u32_e32 v7, v9, v7
	s_addc_u32 s59, s59, 0
	v_mul_lo_u32 v7, v7, s23
	s_cmp_eq_u32 s68, s60
	v_add3_u32 v8, v8, v2, v7
	s_cbranch_scc0 .LBB7_72
; %bb.73:                               ;   in Loop: Header=BB7_9 Depth=1
	s_mov_b32 s2, s68
	s_andn2_b64 vcc, exec, s[56:57]
	s_cbranch_vccz .LBB7_77
	s_branch .LBB7_79
.LBB7_74:                               ;   in Loop: Header=BB7_9 Depth=1
                                        ; implicit-def: $vgpr8
	s_branch .LBB7_80
.LBB7_75:                               ;   in Loop: Header=BB7_9 Depth=1
	v_mov_b32_e32 v8, 0
	s_branch .LBB7_79
.LBB7_76:                               ;   in Loop: Header=BB7_9 Depth=1
	v_mov_b32_e32 v1, v0
	s_andn2_b64 vcc, exec, s[56:57]
	s_cbranch_vccnz .LBB7_79
.LBB7_77:                               ;   in Loop: Header=BB7_9 Depth=1
	s_lshl_b32 s0, s2, 2
	s_add_u32 s0, s44, s0
	s_addc_u32 s1, s45, 0
	s_mul_i32 s2, s2, 12
	s_add_u32 s2, s34, s2
	s_addc_u32 s3, s35, 0
	s_mov_b32 s4, s67
.LBB7_78:                               ;   Parent Loop BB7_9 Depth=1
                                        ; =>  This Inner Loop Header: Depth=2
	s_load_dwordx2 s[6:7], s[2:3], 0x4
	s_load_dword s5, s[2:3], 0xc
	s_load_dword s16, s[0:1], 0x0
	s_add_u32 s2, s2, 12
	s_addc_u32 s3, s3, 0
	s_waitcnt lgkmcnt(0)
	v_mul_hi_u32 v2, s7, v1
	v_add_u32_e32 v2, v1, v2
	v_lshrrev_b32_e32 v2, s5, v2
	s_add_u32 s0, s0, 4
	v_mul_lo_u32 v7, v2, s6
	s_addc_u32 s1, s1, 0
	s_add_i32 s4, s4, -1
	v_sub_u32_e32 v7, v1, v7
	s_cmp_lg_u32 s4, 0
	v_mov_b32_e32 v1, v2
	v_mad_u64_u32 v[8:9], s[6:7], v7, s16, v[8:9]
	s_cbranch_scc1 .LBB7_78
.LBB7_79:                               ;   in Loop: Header=BB7_9 Depth=1
	s_cbranch_execnz .LBB7_7
.LBB7_80:                               ;   in Loop: Header=BB7_9 Depth=1
	v_mul_hi_u32 v1, v0, s10
	v_add_u32_e32 v1, v1, v0
	v_lshrrev_b32_e32 v1, s11, v1
	v_mul_lo_u32 v2, v1, s9
	v_sub_u32_e32 v0, v0, v2
	s_andn2_b64 vcc, exec, s[46:47]
	v_mul_lo_u32 v8, v0, s48
	s_cbranch_vccnz .LBB7_7
; %bb.81:                               ;   in Loop: Header=BB7_9 Depth=1
	v_mul_hi_u32 v0, s8, v1
	v_add_u32_e32 v0, v1, v0
	v_lshrrev_b32_e32 v0, s14, v0
	v_mul_lo_u32 v0, v0, s12
	v_sub_u32_e32 v0, v1, v0
	v_mad_u64_u32 v[8:9], s[0:1], v0, s49, v[8:9]
	s_branch .LBB7_7
.LBB7_82:
	s_endpgm
.LBB7_83:
                                        ; implicit-def: $sgpr2_sgpr3
	s_andn2_b64 vcc, exec, s[0:1]
	s_cbranch_vccz .LBB7_4
	s_branch .LBB7_5
	.section	.rodata,"a",@progbits
	.p2align	6, 0x0
	.amdhsa_kernel _ZN2at6native12_GLOBAL__N_143distribution_elementwise_grid_stride_kernelIfLi4EZNS0_9templates4cuda21uniform_and_transformIffPNS_17CUDAGeneratorImplEZZZNS4_14uniform_kernelIS7_EEvRNS_18TensorIteratorBaseEddT_ENKUlvE_clEvENKUlvE0_clEvEUlfE_EEvSA_T1_T2_EUlP25hiprandStatePhilox4_32_10E0_ZNS1_27distribution_nullary_kernelIff15HIP_vector_typeIfLj4EES7_SJ_SE_EEvSA_SG_RKT3_T4_EUlifE0_EEvlNS_15PhiloxCudaStateESF_SG_
		.amdhsa_group_segment_fixed_size 0
		.amdhsa_private_segment_fixed_size 0
		.amdhsa_kernarg_size 592
		.amdhsa_user_sgpr_count 6
		.amdhsa_user_sgpr_private_segment_buffer 1
		.amdhsa_user_sgpr_dispatch_ptr 0
		.amdhsa_user_sgpr_queue_ptr 0
		.amdhsa_user_sgpr_kernarg_segment_ptr 1
		.amdhsa_user_sgpr_dispatch_id 0
		.amdhsa_user_sgpr_flat_scratch_init 0
		.amdhsa_user_sgpr_kernarg_preload_length 0
		.amdhsa_user_sgpr_kernarg_preload_offset 0
		.amdhsa_user_sgpr_private_segment_size 0
		.amdhsa_uses_dynamic_stack 0
		.amdhsa_system_sgpr_private_segment_wavefront_offset 0
		.amdhsa_system_sgpr_workgroup_id_x 1
		.amdhsa_system_sgpr_workgroup_id_y 0
		.amdhsa_system_sgpr_workgroup_id_z 0
		.amdhsa_system_sgpr_workgroup_info 0
		.amdhsa_system_vgpr_workitem_id 0
		.amdhsa_next_free_vgpr 41
		.amdhsa_next_free_sgpr 70
		.amdhsa_accum_offset 44
		.amdhsa_reserve_vcc 1
		.amdhsa_reserve_flat_scratch 0
		.amdhsa_float_round_mode_32 0
		.amdhsa_float_round_mode_16_64 0
		.amdhsa_float_denorm_mode_32 3
		.amdhsa_float_denorm_mode_16_64 3
		.amdhsa_dx10_clamp 1
		.amdhsa_ieee_mode 1
		.amdhsa_fp16_overflow 0
		.amdhsa_tg_split 0
		.amdhsa_exception_fp_ieee_invalid_op 0
		.amdhsa_exception_fp_denorm_src 0
		.amdhsa_exception_fp_ieee_div_zero 0
		.amdhsa_exception_fp_ieee_overflow 0
		.amdhsa_exception_fp_ieee_underflow 0
		.amdhsa_exception_fp_ieee_inexact 0
		.amdhsa_exception_int_div_zero 0
	.end_amdhsa_kernel
	.section	.text._ZN2at6native12_GLOBAL__N_143distribution_elementwise_grid_stride_kernelIfLi4EZNS0_9templates4cuda21uniform_and_transformIffPNS_17CUDAGeneratorImplEZZZNS4_14uniform_kernelIS7_EEvRNS_18TensorIteratorBaseEddT_ENKUlvE_clEvENKUlvE0_clEvEUlfE_EEvSA_T1_T2_EUlP25hiprandStatePhilox4_32_10E0_ZNS1_27distribution_nullary_kernelIff15HIP_vector_typeIfLj4EES7_SJ_SE_EEvSA_SG_RKT3_T4_EUlifE0_EEvlNS_15PhiloxCudaStateESF_SG_,"axG",@progbits,_ZN2at6native12_GLOBAL__N_143distribution_elementwise_grid_stride_kernelIfLi4EZNS0_9templates4cuda21uniform_and_transformIffPNS_17CUDAGeneratorImplEZZZNS4_14uniform_kernelIS7_EEvRNS_18TensorIteratorBaseEddT_ENKUlvE_clEvENKUlvE0_clEvEUlfE_EEvSA_T1_T2_EUlP25hiprandStatePhilox4_32_10E0_ZNS1_27distribution_nullary_kernelIff15HIP_vector_typeIfLj4EES7_SJ_SE_EEvSA_SG_RKT3_T4_EUlifE0_EEvlNS_15PhiloxCudaStateESF_SG_,comdat
.Lfunc_end7:
	.size	_ZN2at6native12_GLOBAL__N_143distribution_elementwise_grid_stride_kernelIfLi4EZNS0_9templates4cuda21uniform_and_transformIffPNS_17CUDAGeneratorImplEZZZNS4_14uniform_kernelIS7_EEvRNS_18TensorIteratorBaseEddT_ENKUlvE_clEvENKUlvE0_clEvEUlfE_EEvSA_T1_T2_EUlP25hiprandStatePhilox4_32_10E0_ZNS1_27distribution_nullary_kernelIff15HIP_vector_typeIfLj4EES7_SJ_SE_EEvSA_SG_RKT3_T4_EUlifE0_EEvlNS_15PhiloxCudaStateESF_SG_, .Lfunc_end7-_ZN2at6native12_GLOBAL__N_143distribution_elementwise_grid_stride_kernelIfLi4EZNS0_9templates4cuda21uniform_and_transformIffPNS_17CUDAGeneratorImplEZZZNS4_14uniform_kernelIS7_EEvRNS_18TensorIteratorBaseEddT_ENKUlvE_clEvENKUlvE0_clEvEUlfE_EEvSA_T1_T2_EUlP25hiprandStatePhilox4_32_10E0_ZNS1_27distribution_nullary_kernelIff15HIP_vector_typeIfLj4EES7_SJ_SE_EEvSA_SG_RKT3_T4_EUlifE0_EEvlNS_15PhiloxCudaStateESF_SG_
                                        ; -- End function
	.section	.AMDGPU.csdata,"",@progbits
; Kernel info:
; codeLenInByte = 4468
; NumSgprs: 74
; NumVgprs: 41
; NumAgprs: 0
; TotalNumVgprs: 41
; ScratchSize: 0
; MemoryBound: 0
; FloatMode: 240
; IeeeMode: 1
; LDSByteSize: 0 bytes/workgroup (compile time only)
; SGPRBlocks: 9
; VGPRBlocks: 5
; NumSGPRsForWavesPerEU: 74
; NumVGPRsForWavesPerEU: 41
; AccumOffset: 44
; Occupancy: 8
; WaveLimiterHint : 1
; COMPUTE_PGM_RSRC2:SCRATCH_EN: 0
; COMPUTE_PGM_RSRC2:USER_SGPR: 6
; COMPUTE_PGM_RSRC2:TRAP_HANDLER: 0
; COMPUTE_PGM_RSRC2:TGID_X_EN: 1
; COMPUTE_PGM_RSRC2:TGID_Y_EN: 0
; COMPUTE_PGM_RSRC2:TGID_Z_EN: 0
; COMPUTE_PGM_RSRC2:TIDIG_COMP_CNT: 0
; COMPUTE_PGM_RSRC3_GFX90A:ACCUM_OFFSET: 10
; COMPUTE_PGM_RSRC3_GFX90A:TG_SPLIT: 0
	.section	.text._ZN2at6native12_GLOBAL__N_143distribution_elementwise_grid_stride_kernelIfLi4EZNS0_9templates4cuda21uniform_and_transformIN3c104HalfEfPNS_17CUDAGeneratorImplEZZZNS4_14uniform_kernelIS9_EEvRNS_18TensorIteratorBaseEddT_ENKUlvE_clEvENKUlvE1_clEvEUlfE_EEvSC_T1_T2_EUlP25hiprandStatePhilox4_32_10E_ZNS1_27distribution_nullary_kernelIS7_f15HIP_vector_typeIdLj2EES9_SL_SG_EEvSC_SI_RKT3_T4_EUlifE_EEvlNS_15PhiloxCudaStateESH_SI_,"axG",@progbits,_ZN2at6native12_GLOBAL__N_143distribution_elementwise_grid_stride_kernelIfLi4EZNS0_9templates4cuda21uniform_and_transformIN3c104HalfEfPNS_17CUDAGeneratorImplEZZZNS4_14uniform_kernelIS9_EEvRNS_18TensorIteratorBaseEddT_ENKUlvE_clEvENKUlvE1_clEvEUlfE_EEvSC_T1_T2_EUlP25hiprandStatePhilox4_32_10E_ZNS1_27distribution_nullary_kernelIS7_f15HIP_vector_typeIdLj2EES9_SL_SG_EEvSC_SI_RKT3_T4_EUlifE_EEvlNS_15PhiloxCudaStateESH_SI_,comdat
	.globl	_ZN2at6native12_GLOBAL__N_143distribution_elementwise_grid_stride_kernelIfLi4EZNS0_9templates4cuda21uniform_and_transformIN3c104HalfEfPNS_17CUDAGeneratorImplEZZZNS4_14uniform_kernelIS9_EEvRNS_18TensorIteratorBaseEddT_ENKUlvE_clEvENKUlvE1_clEvEUlfE_EEvSC_T1_T2_EUlP25hiprandStatePhilox4_32_10E_ZNS1_27distribution_nullary_kernelIS7_f15HIP_vector_typeIdLj2EES9_SL_SG_EEvSC_SI_RKT3_T4_EUlifE_EEvlNS_15PhiloxCudaStateESH_SI_ ; -- Begin function _ZN2at6native12_GLOBAL__N_143distribution_elementwise_grid_stride_kernelIfLi4EZNS0_9templates4cuda21uniform_and_transformIN3c104HalfEfPNS_17CUDAGeneratorImplEZZZNS4_14uniform_kernelIS9_EEvRNS_18TensorIteratorBaseEddT_ENKUlvE_clEvENKUlvE1_clEvEUlfE_EEvSC_T1_T2_EUlP25hiprandStatePhilox4_32_10E_ZNS1_27distribution_nullary_kernelIS7_f15HIP_vector_typeIdLj2EES9_SL_SG_EEvSC_SI_RKT3_T4_EUlifE_EEvlNS_15PhiloxCudaStateESH_SI_
	.p2align	8
	.type	_ZN2at6native12_GLOBAL__N_143distribution_elementwise_grid_stride_kernelIfLi4EZNS0_9templates4cuda21uniform_and_transformIN3c104HalfEfPNS_17CUDAGeneratorImplEZZZNS4_14uniform_kernelIS9_EEvRNS_18TensorIteratorBaseEddT_ENKUlvE_clEvENKUlvE1_clEvEUlfE_EEvSC_T1_T2_EUlP25hiprandStatePhilox4_32_10E_ZNS1_27distribution_nullary_kernelIS7_f15HIP_vector_typeIdLj2EES9_SL_SG_EEvSC_SI_RKT3_T4_EUlifE_EEvlNS_15PhiloxCudaStateESH_SI_,@function
_ZN2at6native12_GLOBAL__N_143distribution_elementwise_grid_stride_kernelIfLi4EZNS0_9templates4cuda21uniform_and_transformIN3c104HalfEfPNS_17CUDAGeneratorImplEZZZNS4_14uniform_kernelIS9_EEvRNS_18TensorIteratorBaseEddT_ENKUlvE_clEvENKUlvE1_clEvEUlfE_EEvSC_T1_T2_EUlP25hiprandStatePhilox4_32_10E_ZNS1_27distribution_nullary_kernelIS7_f15HIP_vector_typeIdLj2EES9_SL_SG_EEvSC_SI_RKT3_T4_EUlifE_EEvlNS_15PhiloxCudaStateESH_SI_: ; @_ZN2at6native12_GLOBAL__N_143distribution_elementwise_grid_stride_kernelIfLi4EZNS0_9templates4cuda21uniform_and_transformIN3c104HalfEfPNS_17CUDAGeneratorImplEZZZNS4_14uniform_kernelIS9_EEvRNS_18TensorIteratorBaseEddT_ENKUlvE_clEvENKUlvE1_clEvEUlfE_EEvSC_T1_T2_EUlP25hiprandStatePhilox4_32_10E_ZNS1_27distribution_nullary_kernelIS7_f15HIP_vector_typeIdLj2EES9_SL_SG_EEvSC_SI_RKT3_T4_EUlifE_EEvlNS_15PhiloxCudaStateESH_SI_
; %bb.0:
	s_load_dword s7, s[4:5], 0x20
	s_load_dwordx2 s[10:11], s[4:5], 0x10
	s_load_dwordx4 s[0:3], s[4:5], 0x0
	s_mov_b32 s8, 0
	s_waitcnt lgkmcnt(0)
	s_bitcmp0_b32 s7, 0
	v_pk_mov_b32 v[2:3], s[10:11], s[10:11] op_sel:[0,1]
	v_pk_mov_b32 v[14:15], s[2:3], s[2:3] op_sel:[0,1]
	s_cbranch_scc1 .LBB8_2
; %bb.1:
	v_pk_mov_b32 v[2:3], s[10:11], s[10:11] op_sel:[0,1]
	flat_load_dwordx2 v[2:3], v[2:3]
	v_pk_mov_b32 v[4:5], s[2:3], s[2:3] op_sel:[0,1]
	flat_load_dwordx2 v[14:15], v[4:5]
	s_load_dwordx2 s[2:3], s[4:5], 0x18
	s_waitcnt lgkmcnt(0)
	v_mov_b32_e32 v1, s3
	s_waitcnt vmcnt(0)
	v_add_co_u32_e32 v2, vcc, s2, v2
	v_addc_co_u32_e32 v3, vcc, v3, v1, vcc
.LBB8_2:
	s_load_dword s2, s[4:5], 0x54
	s_load_dword s12, s[4:5], 0x48
	s_waitcnt lgkmcnt(0)
	s_and_b32 s7, s2, 0xffff
	s_add_u32 s10, s0, -1
	s_mul_i32 s14, s12, s7
	s_addc_u32 s9, s1, -1
	s_lshl_b32 s15, s14, 2
	s_cmp_lg_u64 s[8:9], 0
	s_mov_b64 s[2:3], -1
	s_cbranch_scc0 .LBB8_23
; %bb.3:
	v_cvt_f32_u32_e32 v1, s15
	v_cvt_f32_ubyte0_e32 v4, 0
	s_sub_u32 s8, 0, s15
	s_subb_u32 s11, 0, 0
	v_madmk_f32 v1, v4, 0x4f800000, v1
	v_rcp_f32_e32 v1, v1
	v_mul_f32_e32 v1, 0x5f7ffffc, v1
	v_mul_f32_e32 v4, 0x2f800000, v1
	v_trunc_f32_e32 v4, v4
	v_madmk_f32 v1, v4, 0xcf800000, v1
	v_cvt_u32_f32_e32 v4, v4
	v_cvt_u32_f32_e32 v1, v1
	v_readfirstlane_b32 s13, v4
	v_readfirstlane_b32 s16, v1
	s_mul_i32 s17, s8, s13
	s_mul_hi_u32 s19, s8, s16
	s_mul_i32 s18, s11, s16
	s_add_i32 s17, s19, s17
	s_add_i32 s17, s17, s18
	s_mul_i32 s20, s8, s16
	s_mul_hi_u32 s18, s16, s17
	s_mul_i32 s19, s16, s17
	s_mul_hi_u32 s16, s16, s20
	s_add_u32 s16, s16, s19
	s_addc_u32 s18, 0, s18
	s_mul_hi_u32 s21, s13, s20
	s_mul_i32 s20, s13, s20
	s_add_u32 s16, s16, s20
	s_mul_hi_u32 s19, s13, s17
	s_addc_u32 s16, s18, s21
	s_addc_u32 s18, s19, 0
	s_mul_i32 s17, s13, s17
	s_add_u32 s16, s16, s17
	s_addc_u32 s17, 0, s18
	v_add_co_u32_e32 v1, vcc, s16, v1
	s_cmp_lg_u64 vcc, 0
	s_addc_u32 s13, s13, s17
	v_readfirstlane_b32 s17, v1
	s_mul_i32 s16, s8, s13
	s_mul_hi_u32 s18, s8, s17
	s_add_i32 s16, s18, s16
	s_mul_i32 s11, s11, s17
	s_add_i32 s16, s16, s11
	s_mul_i32 s8, s8, s17
	s_mul_hi_u32 s18, s13, s8
	s_mul_i32 s19, s13, s8
	s_mul_i32 s21, s17, s16
	s_mul_hi_u32 s8, s17, s8
	s_mul_hi_u32 s20, s17, s16
	s_add_u32 s8, s8, s21
	s_addc_u32 s17, 0, s20
	s_add_u32 s8, s8, s19
	s_mul_hi_u32 s11, s13, s16
	s_addc_u32 s8, s17, s18
	s_addc_u32 s11, s11, 0
	s_mul_i32 s16, s13, s16
	s_add_u32 s8, s8, s16
	s_addc_u32 s11, 0, s11
	v_add_co_u32_e32 v1, vcc, s8, v1
	s_cmp_lg_u64 vcc, 0
	s_addc_u32 s11, s13, s11
	s_ashr_i32 s16, s9, 31
	s_add_u32 s8, s10, s16
	s_mov_b32 s17, s16
	s_addc_u32 s9, s9, s16
	s_xor_b64 s[8:9], s[8:9], s[16:17]
	v_readfirstlane_b32 s19, v1
	s_mul_i32 s18, s8, s11
	s_mul_hi_u32 s20, s8, s19
	s_mul_hi_u32 s13, s8, s11
	s_add_u32 s18, s20, s18
	s_addc_u32 s13, 0, s13
	s_mul_hi_u32 s21, s9, s19
	s_mul_i32 s19, s9, s19
	s_add_u32 s18, s18, s19
	s_mul_hi_u32 s20, s9, s11
	s_addc_u32 s13, s13, s21
	s_addc_u32 s18, s20, 0
	s_mul_i32 s11, s9, s11
	s_add_u32 s11, s13, s11
	s_addc_u32 s13, 0, s18
	s_add_u32 s18, s11, 1
	s_addc_u32 s19, s13, 0
	s_add_u32 s20, s11, 2
	s_mul_i32 s22, s15, s13
	s_mul_hi_u32 s23, s15, s11
	s_addc_u32 s21, s13, 0
	s_add_i32 s23, s23, s22
	s_mul_i32 s22, s15, s11
	v_mov_b32_e32 v1, s22
	v_sub_co_u32_e32 v1, vcc, s8, v1
	s_cmp_lg_u64 vcc, 0
	s_subb_u32 s8, s9, s23
	v_subrev_co_u32_e32 v4, vcc, s15, v1
	s_cmp_lg_u64 vcc, 0
	s_subb_u32 s9, s8, 0
	v_readfirstlane_b32 s22, v4
	s_cmp_ge_u32 s22, s15
	s_cselect_b32 s22, -1, 0
	s_cmp_eq_u32 s9, 0
	s_cselect_b32 s9, s22, -1
	s_cmp_lg_u32 s9, 0
	s_cselect_b32 s9, s21, s19
	v_readfirstlane_b32 s19, v1
	s_cselect_b32 s18, s20, s18
	s_cmp_ge_u32 s19, s15
	s_cselect_b32 s19, -1, 0
	s_cmp_eq_u32 s8, 0
	s_cselect_b32 s8, s19, -1
	s_cmp_lg_u32 s8, 0
	s_cselect_b32 s9, s9, s13
	s_cselect_b32 s8, s18, s11
	s_xor_b64 s[8:9], s[8:9], s[16:17]
	s_sub_u32 s8, s8, s16
	s_subb_u32 s9, s9, s16
	s_cbranch_execnz .LBB8_5
.LBB8_4:
	v_cvt_f32_u32_e32 v1, s15
	s_sub_i32 s2, 0, s15
	s_mov_b32 s9, 0
	v_rcp_iflag_f32_e32 v1, v1
	v_mul_f32_e32 v1, 0x4f7ffffe, v1
	v_cvt_u32_f32_e32 v1, v1
	v_readfirstlane_b32 s3, v1
	s_mul_i32 s2, s2, s3
	s_mul_hi_u32 s2, s3, s2
	s_add_i32 s3, s3, s2
	s_mul_hi_u32 s2, s10, s3
	s_mul_i32 s8, s2, s15
	s_sub_i32 s8, s10, s8
	s_add_i32 s3, s2, 1
	s_sub_i32 s10, s8, s15
	s_cmp_ge_u32 s8, s15
	s_cselect_b32 s2, s3, s2
	s_cselect_b32 s8, s10, s8
	s_add_i32 s3, s2, 1
	s_cmp_ge_u32 s8, s15
	s_cselect_b32 s8, s3, s2
.LBB8_5:
	v_mov_b32_e32 v1, 0
	v_mov_b32_e32 v4, s6
	v_mad_u64_u32 v[16:17], s[2:3], s7, v4, v[0:1]
	s_add_u32 s2, s8, 1
	s_addc_u32 s3, s9, 0
	s_mul_hi_u32 s8, s12, s7
	s_mul_i32 s3, s14, s3
	s_mul_hi_u32 s9, s14, s2
	s_add_i32 s3, s9, s3
	s_mul_i32 s8, s8, s2
	s_add_i32 s3, s3, s8
	s_mul_i32 s2, s14, s2
	s_lshl_b64 s[2:3], s[2:3], 2
	v_cmp_gt_i64_e32 vcc, s[2:3], v[16:17]
	s_and_saveexec_b64 s[8:9], vcc
	s_cbranch_execz .LBB8_22
; %bb.6:
	s_load_dwordx4 s[8:11], s[4:5], 0x30
	s_load_dword s16, s[4:5], 0x40
	s_mov_b32 s4, 0x5384540f
	v_mov_b32_e32 v4, v15
	v_add_co_u32_e32 v22, vcc, s4, v14
	s_mov_b32 s4, 0x646e171e
	v_add_co_u32_e32 v23, vcc, s4, v4
	s_mov_b32 s4, 0x1715609d
	v_add_co_u32_e32 v24, vcc, s4, v14
	s_mov_b32 s4, 0xed9eba14
	v_add_co_u32_e32 v25, vcc, s4, v4
	s_mov_b32 s4, 0xdaa66d2b
	v_add_co_u32_e32 v26, vcc, s4, v14
	s_mov_b32 s4, 0x76cf5d0a
	v_add_co_u32_e32 v27, vcc, s4, v4
	s_mov_b32 s4, 0x9e3779b9
	v_alignbit_b32 v29, v3, v2, 2
	s_mov_b32 s19, 0xd2511f53
	v_add_co_u32_e32 v28, vcc, s4, v14
	v_mad_u64_u32 v[6:7], s[4:5], v29, s19, 0
	v_xor_b32_e32 v1, v7, v15
	v_xor_b32_e32 v1, v1, v17
	s_mov_b32 s20, 0xcd9e8d57
	v_mad_u64_u32 v[8:9], s[4:5], v1, s20, 0
	v_xor_b32_e32 v1, v28, v9
	v_mad_u64_u32 v[10:11], s[4:5], v16, s20, 0
	v_and_b32_e32 v18, 3, v2
	v_xor_b32_e32 v1, v1, v10
	v_xor_b32_e32 v2, v14, v11
	v_lshrrev_b32_e32 v30, 2, v3
	v_mad_u64_u32 v[12:13], s[4:5], v1, s19, 0
	v_xor_b32_e32 v2, v2, v30
	v_xor_b32_e32 v1, v27, v13
	v_mad_u64_u32 v[2:3], s[4:5], v2, s19, 0
	v_xor_b32_e32 v1, v1, v2
	v_mad_u64_u32 v[10:11], s[4:5], v1, s20, 0
	s_mov_b32 s4, 0xbb67ae85
	v_add_co_u32_e32 v31, vcc, s4, v4
	v_xor_b32_e32 v2, v31, v3
	v_xor_b32_e32 v2, v2, v6
	v_xor_b32_e32 v1, v26, v11
	v_mad_u64_u32 v[2:3], s[4:5], v2, s20, 0
	v_xor_b32_e32 v1, v1, v2
	v_mad_u64_u32 v[6:7], s[4:5], v1, s19, 0
	s_mov_b32 s4, 0x3c6ef372
	v_add_co_u32_e32 v32, vcc, s4, v14
	v_xor_b32_e32 v2, v32, v3
	;; [unrolled: 8-line block ×6, first 2 shown]
	v_add_co_u32_e32 v21, vcc, 0xdb3d7428, v4
	v_xor_b32_e32 v2, v2, v8
	v_xor_b32_e32 v1, v21, v7
	v_mad_u64_u32 v[2:3], s[4:5], v2, s19, 0
	v_xor_b32_e32 v1, v1, v2
	v_mad_u64_u32 v[8:9], s[4:5], v1, s20, 0
	s_mov_b32 s4, 0x1fd5c5a3
	v_add_co_u32_e32 v37, vcc, s4, v4
	v_xor_b32_e32 v1, v37, v3
	v_xor_b32_e32 v1, v1, v12
	v_mad_u64_u32 v[2:3], s[4:5], v1, s20, 0
	s_mov_b32 s4, 0xf1bbcdc8
	v_add_u32_e32 v19, 0x8ff34781, v14
	v_xor_b32_e32 v1, v9, v2
	v_add_co_u32_e32 v38, vcc, s4, v14
	v_xor_b32_e32 v2, v19, v1
	v_xor_b32_e32 v1, v38, v3
	;; [unrolled: 1-line block ×3, first 2 shown]
	v_mad_u64_u32 v[10:11], s[4:5], v1, s19, 0
	v_add_u32_e32 v20, 0x96a522ad, v15
	v_xor_b32_e32 v1, v11, v6
	s_mul_i32 s4, s6, s7
	v_xor_b32_e32 v4, v20, v1
	v_add_u32_e32 v1, s4, v0
	s_waitcnt lgkmcnt(0)
	s_mul_i32 s4, s12, s10
	s_mul_i32 s4, s4, s7
	v_cvt_f32_f16_e32 v39, s16
	s_lshl_b32 s21, s4, 2
	s_add_i32 s4, s6, s12
	s_mul_i32 s4, s4, s7
	s_mov_b32 s17, 0
	v_add_u32_e32 v0, s4, v0
	s_lshr_b32 s18, s16, 16
	v_mov_b32_e32 v3, v8
	v_mov_b32_e32 v5, v10
	v_mul_lo_u32 v40, s10, v1
	v_mul_lo_u32 v41, s10, v0
	s_mov_b64 s[4:5], 0
	s_mov_b32 s10, s17
	v_mov_b32_e32 v42, v16
	v_mov_b32_e32 v43, v17
	s_branch .LBB8_8
.LBB8_7:                                ;   in Loop: Header=BB8_8 Depth=1
	s_or_b64 exec, exec, s[6:7]
	v_add_co_u32_e32 v16, vcc, s15, v16
	v_addc_co_u32_e32 v17, vcc, 0, v17, vcc
	v_mov_b32_e32 v9, v0
	s_add_i32 s10, s10, s21
	v_cmp_le_i64_e32 vcc, s[2:3], v[16:17]
	v_pk_mov_b32 v[2:3], v[6:7], v[6:7] op_sel:[0,1]
	s_or_b64 s[4:5], vcc, s[4:5]
	v_pk_mov_b32 v[4:5], v[8:9], v[8:9] op_sel:[0,1]
	s_barrier
	s_andn2_b64 exec, exec, s[4:5]
	s_cbranch_execz .LBB8_22
.LBB8_8:                                ; =>This Inner Loop Header: Depth=1
	v_add_co_u32_e32 v29, vcc, 1, v29
	v_cndmask_b32_e64 v0, 0, 1, vcc
	v_addc_co_u32_e32 v30, vcc, 0, v30, vcc
	v_cmp_eq_u32_e32 vcc, 0, v30
	v_cndmask_b32_e32 v0, 0, v0, vcc
	v_add_u32_e32 v42, v0, v42
	v_cmp_eq_u32_e32 vcc, 0, v42
	v_cndmask_b32_e32 v0, 0, v0, vcc
	v_add_u32_e32 v43, v0, v43
	v_mad_u64_u32 v[0:1], s[6:7], v29, s19, 0
	v_mad_u64_u32 v[6:7], s[6:7], v42, s20, 0
	v_xor_b32_e32 v1, v1, v15
	v_xor_b32_e32 v7, v7, v14
	v_xor_b32_e32 v1, v43, v1
	v_xor_b32_e32 v7, v30, v7
	v_mad_u64_u32 v[10:11], s[6:7], v1, s20, 0
	v_mad_u64_u32 v[8:9], s[6:7], v7, s19, 0
	v_xor_b32_e32 v1, v28, v11
	v_xor_b32_e32 v1, v1, v6
	v_xor_b32_e32 v6, v31, v9
	v_xor_b32_e32 v6, v6, v0
	;; [unrolled: 6-line block ×10, first 2 shown]
	v_mov_b32_e32 v7, v12
	v_mov_b32_e32 v8, v13
	v_cmp_lt_i32_e32 vcc, 1, v18
	s_and_saveexec_b64 s[6:7], vcc
	s_xor_b64 s[6:7], exec, s[6:7]
	s_cbranch_execnz .LBB8_14
; %bb.9:                                ;   in Loop: Header=BB8_8 Depth=1
	s_andn2_saveexec_b64 s[6:7], s[6:7]
	s_cbranch_execnz .LBB8_19
.LBB8_10:                               ;   in Loop: Header=BB8_8 Depth=1
	s_or_b64 exec, exec, s[6:7]
	v_cmp_gt_i64_e32 vcc, s[0:1], v[16:17]
	s_and_saveexec_b64 s[6:7], vcc
	s_cbranch_execz .LBB8_12
.LBB8_11:                               ;   in Loop: Header=BB8_8 Depth=1
	v_lshrrev_b32_e32 v1, 11, v3
	v_cvt_f64_u32_e32 v[10:11], v1
	v_ldexp_f64 v[10:11], v[10:11], 32
	v_cvt_f64_u32_e32 v[2:3], v2
	v_add_f64 v[2:3], v[10:11], v[2:3]
	v_mov_b32_e32 v10, 0
	v_mov_b32_e32 v11, 0x3ca00000
	v_fmac_f64_e32 v[10:11], 0x3ca00000, v[2:3]
	v_add_u32_e32 v2, s10, v40
	v_cvt_f32_f64_e32 v1, v[10:11]
	v_ashrrev_i32_e32 v3, 31, v2
	v_mov_b32_e32 v9, s9
	v_add_co_u32_e32 v2, vcc, s8, v2
	v_addc_co_u32_e32 v3, vcc, v9, v3, vcc
	v_fma_mixlo_f16 v1, s11, v1, v39
	v_mov_b32_e32 v9, s16
	v_cmp_eq_f16_e32 vcc, s18, v1
	v_cndmask_b32_e32 v1, v1, v9, vcc
	global_store_short v[2:3], v1, off
.LBB8_12:                               ;   in Loop: Header=BB8_8 Depth=1
	s_or_b64 exec, exec, s[6:7]
	v_mov_b32_e32 v1, s17
	v_add_co_u32_e32 v2, vcc, s14, v16
	v_addc_co_u32_e32 v3, vcc, v1, v17, vcc
	v_cmp_gt_i64_e32 vcc, s[0:1], v[2:3]
	s_and_saveexec_b64 s[6:7], vcc
	s_cbranch_execz .LBB8_7
; %bb.13:                               ;   in Loop: Header=BB8_8 Depth=1
	v_lshrrev_b32_e32 v1, 11, v5
	v_cvt_f64_u32_e32 v[2:3], v1
	v_ldexp_f64 v[2:3], v[2:3], 32
	v_cvt_f64_u32_e32 v[4:5], v4
	v_add_f64 v[2:3], v[2:3], v[4:5]
	v_mov_b32_e32 v4, 0
	v_mov_b32_e32 v5, 0x3ca00000
	v_fmac_f64_e32 v[4:5], 0x3ca00000, v[2:3]
	v_add_u32_e32 v2, s10, v41
	v_cvt_f32_f64_e32 v1, v[4:5]
	v_ashrrev_i32_e32 v3, 31, v2
	v_mov_b32_e32 v4, s9
	v_add_co_u32_e32 v2, vcc, s8, v2
	v_addc_co_u32_e32 v3, vcc, v4, v3, vcc
	v_fma_mixlo_f16 v1, s11, v1, v39
	v_mov_b32_e32 v4, s16
	v_cmp_eq_f16_e32 vcc, s18, v1
	v_cndmask_b32_e32 v1, v1, v4, vcc
	global_store_short v[2:3], v1, off
	s_branch .LBB8_7
.LBB8_14:                               ;   in Loop: Header=BB8_8 Depth=1
	v_cmp_lt_i32_e32 vcc, 2, v18
	s_and_saveexec_b64 s[12:13], vcc
	s_xor_b64 s[12:13], exec, s[12:13]
; %bb.15:                               ;   in Loop: Header=BB8_8 Depth=1
	v_mov_b32_e32 v10, v5
	v_mov_b32_e32 v11, v6
	v_pk_mov_b32 v[2:3], v[10:11], v[10:11] op_sel:[0,1]
	v_pk_mov_b32 v[4:5], v[12:13], v[12:13] op_sel:[0,1]
                                        ; implicit-def: $vgpr12_vgpr13
; %bb.16:                               ;   in Loop: Header=BB8_8 Depth=1
	s_andn2_saveexec_b64 s[12:13], s[12:13]
; %bb.17:                               ;   in Loop: Header=BB8_8 Depth=1
	v_mov_b32_e32 v2, v4
	v_mov_b32_e32 v3, v5
	;; [unrolled: 1-line block ×4, first 2 shown]
; %bb.18:                               ;   in Loop: Header=BB8_8 Depth=1
	s_or_b64 exec, exec, s[12:13]
	s_andn2_saveexec_b64 s[6:7], s[6:7]
	s_cbranch_execz .LBB8_10
.LBB8_19:                               ;   in Loop: Header=BB8_8 Depth=1
	v_cmp_eq_u32_e32 vcc, 1, v18
	s_and_saveexec_b64 s[12:13], vcc
; %bb.20:                               ;   in Loop: Header=BB8_8 Depth=1
	v_mov_b32_e32 v2, v3
	v_mov_b32_e32 v3, v4
	;; [unrolled: 1-line block ×4, first 2 shown]
; %bb.21:                               ;   in Loop: Header=BB8_8 Depth=1
	s_or_b64 exec, exec, s[12:13]
	s_or_b64 exec, exec, s[6:7]
	v_cmp_gt_i64_e32 vcc, s[0:1], v[16:17]
	s_and_saveexec_b64 s[6:7], vcc
	s_cbranch_execnz .LBB8_11
	s_branch .LBB8_12
.LBB8_22:
	s_endpgm
.LBB8_23:
                                        ; implicit-def: $sgpr8_sgpr9
	s_andn2_b64 vcc, exec, s[2:3]
	s_cbranch_vccz .LBB8_4
	s_branch .LBB8_5
	.section	.rodata,"a",@progbits
	.p2align	6, 0x0
	.amdhsa_kernel _ZN2at6native12_GLOBAL__N_143distribution_elementwise_grid_stride_kernelIfLi4EZNS0_9templates4cuda21uniform_and_transformIN3c104HalfEfPNS_17CUDAGeneratorImplEZZZNS4_14uniform_kernelIS9_EEvRNS_18TensorIteratorBaseEddT_ENKUlvE_clEvENKUlvE1_clEvEUlfE_EEvSC_T1_T2_EUlP25hiprandStatePhilox4_32_10E_ZNS1_27distribution_nullary_kernelIS7_f15HIP_vector_typeIdLj2EES9_SL_SG_EEvSC_SI_RKT3_T4_EUlifE_EEvlNS_15PhiloxCudaStateESH_SI_
		.amdhsa_group_segment_fixed_size 0
		.amdhsa_private_segment_fixed_size 0
		.amdhsa_kernarg_size 328
		.amdhsa_user_sgpr_count 6
		.amdhsa_user_sgpr_private_segment_buffer 1
		.amdhsa_user_sgpr_dispatch_ptr 0
		.amdhsa_user_sgpr_queue_ptr 0
		.amdhsa_user_sgpr_kernarg_segment_ptr 1
		.amdhsa_user_sgpr_dispatch_id 0
		.amdhsa_user_sgpr_flat_scratch_init 0
		.amdhsa_user_sgpr_kernarg_preload_length 0
		.amdhsa_user_sgpr_kernarg_preload_offset 0
		.amdhsa_user_sgpr_private_segment_size 0
		.amdhsa_uses_dynamic_stack 0
		.amdhsa_system_sgpr_private_segment_wavefront_offset 0
		.amdhsa_system_sgpr_workgroup_id_x 1
		.amdhsa_system_sgpr_workgroup_id_y 0
		.amdhsa_system_sgpr_workgroup_id_z 0
		.amdhsa_system_sgpr_workgroup_info 0
		.amdhsa_system_vgpr_workitem_id 0
		.amdhsa_next_free_vgpr 46
		.amdhsa_next_free_sgpr 24
		.amdhsa_accum_offset 48
		.amdhsa_reserve_vcc 1
		.amdhsa_reserve_flat_scratch 0
		.amdhsa_float_round_mode_32 0
		.amdhsa_float_round_mode_16_64 0
		.amdhsa_float_denorm_mode_32 3
		.amdhsa_float_denorm_mode_16_64 3
		.amdhsa_dx10_clamp 1
		.amdhsa_ieee_mode 1
		.amdhsa_fp16_overflow 0
		.amdhsa_tg_split 0
		.amdhsa_exception_fp_ieee_invalid_op 0
		.amdhsa_exception_fp_denorm_src 0
		.amdhsa_exception_fp_ieee_div_zero 0
		.amdhsa_exception_fp_ieee_overflow 0
		.amdhsa_exception_fp_ieee_underflow 0
		.amdhsa_exception_fp_ieee_inexact 0
		.amdhsa_exception_int_div_zero 0
	.end_amdhsa_kernel
	.section	.text._ZN2at6native12_GLOBAL__N_143distribution_elementwise_grid_stride_kernelIfLi4EZNS0_9templates4cuda21uniform_and_transformIN3c104HalfEfPNS_17CUDAGeneratorImplEZZZNS4_14uniform_kernelIS9_EEvRNS_18TensorIteratorBaseEddT_ENKUlvE_clEvENKUlvE1_clEvEUlfE_EEvSC_T1_T2_EUlP25hiprandStatePhilox4_32_10E_ZNS1_27distribution_nullary_kernelIS7_f15HIP_vector_typeIdLj2EES9_SL_SG_EEvSC_SI_RKT3_T4_EUlifE_EEvlNS_15PhiloxCudaStateESH_SI_,"axG",@progbits,_ZN2at6native12_GLOBAL__N_143distribution_elementwise_grid_stride_kernelIfLi4EZNS0_9templates4cuda21uniform_and_transformIN3c104HalfEfPNS_17CUDAGeneratorImplEZZZNS4_14uniform_kernelIS9_EEvRNS_18TensorIteratorBaseEddT_ENKUlvE_clEvENKUlvE1_clEvEUlfE_EEvSC_T1_T2_EUlP25hiprandStatePhilox4_32_10E_ZNS1_27distribution_nullary_kernelIS7_f15HIP_vector_typeIdLj2EES9_SL_SG_EEvSC_SI_RKT3_T4_EUlifE_EEvlNS_15PhiloxCudaStateESH_SI_,comdat
.Lfunc_end8:
	.size	_ZN2at6native12_GLOBAL__N_143distribution_elementwise_grid_stride_kernelIfLi4EZNS0_9templates4cuda21uniform_and_transformIN3c104HalfEfPNS_17CUDAGeneratorImplEZZZNS4_14uniform_kernelIS9_EEvRNS_18TensorIteratorBaseEddT_ENKUlvE_clEvENKUlvE1_clEvEUlfE_EEvSC_T1_T2_EUlP25hiprandStatePhilox4_32_10E_ZNS1_27distribution_nullary_kernelIS7_f15HIP_vector_typeIdLj2EES9_SL_SG_EEvSC_SI_RKT3_T4_EUlifE_EEvlNS_15PhiloxCudaStateESH_SI_, .Lfunc_end8-_ZN2at6native12_GLOBAL__N_143distribution_elementwise_grid_stride_kernelIfLi4EZNS0_9templates4cuda21uniform_and_transformIN3c104HalfEfPNS_17CUDAGeneratorImplEZZZNS4_14uniform_kernelIS9_EEvRNS_18TensorIteratorBaseEddT_ENKUlvE_clEvENKUlvE1_clEvEUlfE_EEvSC_T1_T2_EUlP25hiprandStatePhilox4_32_10E_ZNS1_27distribution_nullary_kernelIS7_f15HIP_vector_typeIdLj2EES9_SL_SG_EEvSC_SI_RKT3_T4_EUlifE_EEvlNS_15PhiloxCudaStateESH_SI_
                                        ; -- End function
	.section	.AMDGPU.csdata,"",@progbits
; Kernel info:
; codeLenInByte = 2312
; NumSgprs: 28
; NumVgprs: 46
; NumAgprs: 0
; TotalNumVgprs: 46
; ScratchSize: 0
; MemoryBound: 0
; FloatMode: 240
; IeeeMode: 1
; LDSByteSize: 0 bytes/workgroup (compile time only)
; SGPRBlocks: 3
; VGPRBlocks: 5
; NumSGPRsForWavesPerEU: 28
; NumVGPRsForWavesPerEU: 46
; AccumOffset: 48
; Occupancy: 8
; WaveLimiterHint : 0
; COMPUTE_PGM_RSRC2:SCRATCH_EN: 0
; COMPUTE_PGM_RSRC2:USER_SGPR: 6
; COMPUTE_PGM_RSRC2:TRAP_HANDLER: 0
; COMPUTE_PGM_RSRC2:TGID_X_EN: 1
; COMPUTE_PGM_RSRC2:TGID_Y_EN: 0
; COMPUTE_PGM_RSRC2:TGID_Z_EN: 0
; COMPUTE_PGM_RSRC2:TIDIG_COMP_CNT: 0
; COMPUTE_PGM_RSRC3_GFX90A:ACCUM_OFFSET: 11
; COMPUTE_PGM_RSRC3_GFX90A:TG_SPLIT: 0
	.section	.text._ZN2at6native12_GLOBAL__N_143distribution_elementwise_grid_stride_kernelIfLi4EZNS0_9templates4cuda21uniform_and_transformIN3c104HalfEfPNS_17CUDAGeneratorImplEZZZNS4_14uniform_kernelIS9_EEvRNS_18TensorIteratorBaseEddT_ENKUlvE_clEvENKUlvE1_clEvEUlfE_EEvSC_T1_T2_EUlP25hiprandStatePhilox4_32_10E_ZNS1_27distribution_nullary_kernelIS7_f15HIP_vector_typeIdLj2EES9_SL_SG_EEvSC_SI_RKT3_T4_EUlifE0_EEvlNS_15PhiloxCudaStateESH_SI_,"axG",@progbits,_ZN2at6native12_GLOBAL__N_143distribution_elementwise_grid_stride_kernelIfLi4EZNS0_9templates4cuda21uniform_and_transformIN3c104HalfEfPNS_17CUDAGeneratorImplEZZZNS4_14uniform_kernelIS9_EEvRNS_18TensorIteratorBaseEddT_ENKUlvE_clEvENKUlvE1_clEvEUlfE_EEvSC_T1_T2_EUlP25hiprandStatePhilox4_32_10E_ZNS1_27distribution_nullary_kernelIS7_f15HIP_vector_typeIdLj2EES9_SL_SG_EEvSC_SI_RKT3_T4_EUlifE0_EEvlNS_15PhiloxCudaStateESH_SI_,comdat
	.globl	_ZN2at6native12_GLOBAL__N_143distribution_elementwise_grid_stride_kernelIfLi4EZNS0_9templates4cuda21uniform_and_transformIN3c104HalfEfPNS_17CUDAGeneratorImplEZZZNS4_14uniform_kernelIS9_EEvRNS_18TensorIteratorBaseEddT_ENKUlvE_clEvENKUlvE1_clEvEUlfE_EEvSC_T1_T2_EUlP25hiprandStatePhilox4_32_10E_ZNS1_27distribution_nullary_kernelIS7_f15HIP_vector_typeIdLj2EES9_SL_SG_EEvSC_SI_RKT3_T4_EUlifE0_EEvlNS_15PhiloxCudaStateESH_SI_ ; -- Begin function _ZN2at6native12_GLOBAL__N_143distribution_elementwise_grid_stride_kernelIfLi4EZNS0_9templates4cuda21uniform_and_transformIN3c104HalfEfPNS_17CUDAGeneratorImplEZZZNS4_14uniform_kernelIS9_EEvRNS_18TensorIteratorBaseEddT_ENKUlvE_clEvENKUlvE1_clEvEUlfE_EEvSC_T1_T2_EUlP25hiprandStatePhilox4_32_10E_ZNS1_27distribution_nullary_kernelIS7_f15HIP_vector_typeIdLj2EES9_SL_SG_EEvSC_SI_RKT3_T4_EUlifE0_EEvlNS_15PhiloxCudaStateESH_SI_
	.p2align	8
	.type	_ZN2at6native12_GLOBAL__N_143distribution_elementwise_grid_stride_kernelIfLi4EZNS0_9templates4cuda21uniform_and_transformIN3c104HalfEfPNS_17CUDAGeneratorImplEZZZNS4_14uniform_kernelIS9_EEvRNS_18TensorIteratorBaseEddT_ENKUlvE_clEvENKUlvE1_clEvEUlfE_EEvSC_T1_T2_EUlP25hiprandStatePhilox4_32_10E_ZNS1_27distribution_nullary_kernelIS7_f15HIP_vector_typeIdLj2EES9_SL_SG_EEvSC_SI_RKT3_T4_EUlifE0_EEvlNS_15PhiloxCudaStateESH_SI_,@function
_ZN2at6native12_GLOBAL__N_143distribution_elementwise_grid_stride_kernelIfLi4EZNS0_9templates4cuda21uniform_and_transformIN3c104HalfEfPNS_17CUDAGeneratorImplEZZZNS4_14uniform_kernelIS9_EEvRNS_18TensorIteratorBaseEddT_ENKUlvE_clEvENKUlvE1_clEvEUlfE_EEvSC_T1_T2_EUlP25hiprandStatePhilox4_32_10E_ZNS1_27distribution_nullary_kernelIS7_f15HIP_vector_typeIdLj2EES9_SL_SG_EEvSC_SI_RKT3_T4_EUlifE0_EEvlNS_15PhiloxCudaStateESH_SI_: ; @_ZN2at6native12_GLOBAL__N_143distribution_elementwise_grid_stride_kernelIfLi4EZNS0_9templates4cuda21uniform_and_transformIN3c104HalfEfPNS_17CUDAGeneratorImplEZZZNS4_14uniform_kernelIS9_EEvRNS_18TensorIteratorBaseEddT_ENKUlvE_clEvENKUlvE1_clEvEUlfE_EEvSC_T1_T2_EUlP25hiprandStatePhilox4_32_10E_ZNS1_27distribution_nullary_kernelIS7_f15HIP_vector_typeIdLj2EES9_SL_SG_EEvSC_SI_RKT3_T4_EUlifE0_EEvlNS_15PhiloxCudaStateESH_SI_
; %bb.0:
	s_load_dword s2, s[4:5], 0x20
	s_load_dwordx2 s[0:1], s[4:5], 0x10
	s_load_dwordx4 s[24:27], s[4:5], 0x0
	s_waitcnt lgkmcnt(0)
	s_bitcmp0_b32 s2, 0
	s_mov_b32 s2, 0
	v_pk_mov_b32 v[2:3], s[0:1], s[0:1] op_sel:[0,1]
	v_pk_mov_b32 v[12:13], s[26:27], s[26:27] op_sel:[0,1]
	s_cbranch_scc1 .LBB9_2
; %bb.1:
	v_pk_mov_b32 v[2:3], s[0:1], s[0:1] op_sel:[0,1]
	flat_load_dwordx2 v[2:3], v[2:3]
	v_pk_mov_b32 v[4:5], s[26:27], s[26:27] op_sel:[0,1]
	flat_load_dwordx2 v[12:13], v[4:5]
	s_load_dwordx2 s[0:1], s[4:5], 0x18
	s_waitcnt lgkmcnt(0)
	v_mov_b32_e32 v1, s1
	s_waitcnt vmcnt(0)
	v_add_co_u32_e32 v2, vcc, s0, v2
	v_addc_co_u32_e32 v3, vcc, v3, v1, vcc
.LBB9_2:
	s_load_dword s0, s[4:5], 0x154
	s_load_dword s7, s[4:5], 0x148
	s_waitcnt lgkmcnt(0)
	s_and_b32 s8, s0, 0xffff
	s_add_u32 s9, s24, -1
	s_mul_i32 s33, s7, s8
	s_addc_u32 s3, s25, -1
	s_lshl_b32 s60, s33, 2
	s_cmp_lg_u64 s[2:3], 0
	s_mov_b64 s[0:1], -1
	s_cbranch_scc0 .LBB9_51
; %bb.3:
	v_cvt_f32_u32_e32 v1, s60
	v_cvt_f32_ubyte0_e32 v4, 0
	s_sub_u32 s2, 0, s60
	s_subb_u32 s10, 0, 0
	v_madmk_f32 v1, v4, 0x4f800000, v1
	v_rcp_f32_e32 v1, v1
	v_mul_f32_e32 v1, 0x5f7ffffc, v1
	v_mul_f32_e32 v4, 0x2f800000, v1
	v_trunc_f32_e32 v4, v4
	v_madmk_f32 v1, v4, 0xcf800000, v1
	v_cvt_u32_f32_e32 v4, v4
	v_cvt_u32_f32_e32 v1, v1
	v_readfirstlane_b32 s11, v4
	v_readfirstlane_b32 s12, v1
	s_mul_i32 s13, s2, s11
	s_mul_hi_u32 s15, s2, s12
	s_mul_i32 s14, s10, s12
	s_add_i32 s13, s15, s13
	s_add_i32 s13, s13, s14
	s_mul_i32 s16, s2, s12
	s_mul_hi_u32 s14, s12, s13
	s_mul_i32 s15, s12, s13
	s_mul_hi_u32 s12, s12, s16
	s_add_u32 s12, s12, s15
	s_addc_u32 s14, 0, s14
	s_mul_hi_u32 s17, s11, s16
	s_mul_i32 s16, s11, s16
	s_add_u32 s12, s12, s16
	s_mul_hi_u32 s15, s11, s13
	s_addc_u32 s12, s14, s17
	s_addc_u32 s14, s15, 0
	s_mul_i32 s13, s11, s13
	s_add_u32 s12, s12, s13
	s_addc_u32 s13, 0, s14
	v_add_co_u32_e32 v1, vcc, s12, v1
	s_cmp_lg_u64 vcc, 0
	s_addc_u32 s11, s11, s13
	v_readfirstlane_b32 s13, v1
	s_mul_i32 s12, s2, s11
	s_mul_hi_u32 s14, s2, s13
	s_add_i32 s12, s14, s12
	s_mul_i32 s10, s10, s13
	s_add_i32 s12, s12, s10
	s_mul_i32 s2, s2, s13
	s_mul_hi_u32 s14, s11, s2
	s_mul_i32 s15, s11, s2
	s_mul_i32 s17, s13, s12
	s_mul_hi_u32 s2, s13, s2
	s_mul_hi_u32 s16, s13, s12
	s_add_u32 s2, s2, s17
	s_addc_u32 s13, 0, s16
	s_add_u32 s2, s2, s15
	s_mul_hi_u32 s10, s11, s12
	s_addc_u32 s2, s13, s14
	s_addc_u32 s10, s10, 0
	s_mul_i32 s12, s11, s12
	s_add_u32 s2, s2, s12
	s_addc_u32 s10, 0, s10
	v_add_co_u32_e32 v1, vcc, s2, v1
	s_cmp_lg_u64 vcc, 0
	s_addc_u32 s12, s11, s10
	s_ashr_i32 s10, s3, 31
	s_add_u32 s2, s9, s10
	s_mov_b32 s11, s10
	s_addc_u32 s3, s3, s10
	s_xor_b64 s[2:3], s[2:3], s[10:11]
	v_readfirstlane_b32 s15, v1
	s_mul_i32 s14, s2, s12
	s_mul_hi_u32 s16, s2, s15
	s_mul_hi_u32 s13, s2, s12
	s_add_u32 s14, s16, s14
	s_addc_u32 s13, 0, s13
	s_mul_hi_u32 s17, s3, s15
	s_mul_i32 s15, s3, s15
	s_add_u32 s14, s14, s15
	s_mul_hi_u32 s16, s3, s12
	s_addc_u32 s13, s13, s17
	s_addc_u32 s14, s16, 0
	s_mul_i32 s12, s3, s12
	s_add_u32 s12, s13, s12
	s_addc_u32 s13, 0, s14
	s_add_u32 s14, s12, 1
	s_addc_u32 s15, s13, 0
	s_add_u32 s16, s12, 2
	s_mul_i32 s18, s60, s13
	s_mul_hi_u32 s19, s60, s12
	s_addc_u32 s17, s13, 0
	s_add_i32 s19, s19, s18
	s_mul_i32 s18, s60, s12
	v_mov_b32_e32 v1, s18
	v_sub_co_u32_e32 v1, vcc, s2, v1
	s_cmp_lg_u64 vcc, 0
	s_subb_u32 s2, s3, s19
	v_subrev_co_u32_e32 v4, vcc, s60, v1
	s_cmp_lg_u64 vcc, 0
	s_subb_u32 s3, s2, 0
	v_readfirstlane_b32 s18, v4
	s_cmp_ge_u32 s18, s60
	s_cselect_b32 s18, -1, 0
	s_cmp_eq_u32 s3, 0
	s_cselect_b32 s3, s18, -1
	s_cmp_lg_u32 s3, 0
	s_cselect_b32 s3, s17, s15
	v_readfirstlane_b32 s15, v1
	s_cselect_b32 s14, s16, s14
	s_cmp_ge_u32 s15, s60
	s_cselect_b32 s15, -1, 0
	s_cmp_eq_u32 s2, 0
	s_cselect_b32 s2, s15, -1
	s_cmp_lg_u32 s2, 0
	s_cselect_b32 s3, s3, s13
	s_cselect_b32 s2, s14, s12
	s_xor_b64 s[2:3], s[2:3], s[10:11]
	s_sub_u32 s2, s2, s10
	s_subb_u32 s3, s3, s10
	s_cbranch_execnz .LBB9_5
.LBB9_4:
	v_cvt_f32_u32_e32 v1, s60
	s_sub_i32 s0, 0, s60
	s_mov_b32 s3, 0
	v_rcp_iflag_f32_e32 v1, v1
	v_mul_f32_e32 v1, 0x4f7ffffe, v1
	v_cvt_u32_f32_e32 v1, v1
	v_readfirstlane_b32 s1, v1
	s_mul_i32 s0, s0, s1
	s_mul_hi_u32 s0, s1, s0
	s_add_i32 s1, s1, s0
	s_mul_hi_u32 s0, s9, s1
	s_mul_i32 s2, s0, s60
	s_sub_i32 s2, s9, s2
	s_add_i32 s1, s0, 1
	s_sub_i32 s9, s2, s60
	s_cmp_ge_u32 s2, s60
	s_cselect_b32 s0, s1, s0
	s_cselect_b32 s2, s9, s2
	s_add_i32 s1, s0, 1
	s_cmp_ge_u32 s2, s60
	s_cselect_b32 s2, s1, s0
.LBB9_5:
	v_mov_b32_e32 v1, 0
	v_mov_b32_e32 v4, s6
	v_mad_u64_u32 v[14:15], s[0:1], s8, v4, v[0:1]
	s_add_u32 s0, s2, 1
	s_addc_u32 s1, s3, 0
	s_mul_hi_u32 s2, s7, s8
	s_mul_i32 s1, s33, s1
	s_mul_hi_u32 s3, s33, s0
	s_add_i32 s1, s3, s1
	s_mul_i32 s2, s2, s0
	s_add_i32 s1, s1, s2
	s_mul_i32 s0, s33, s0
	s_lshl_b64 s[26:27], s[0:1], 2
	v_cmp_gt_i64_e32 vcc, s[26:27], v[14:15]
	s_and_saveexec_b64 s[0:1], vcc
	s_cbranch_execz .LBB9_50
; %bb.6:
	s_mov_b32 s0, 0x5384540f
	v_mov_b32_e32 v0, v13
	v_add_co_u32_e32 v22, vcc, s0, v12
	s_mov_b32 s0, 0x646e171e
	v_add_co_u32_e32 v23, vcc, s0, v0
	s_mov_b32 s0, 0x1715609d
	v_add_co_u32_e32 v24, vcc, s0, v12
	s_mov_b32 s0, 0xed9eba14
	v_add_co_u32_e32 v25, vcc, s0, v0
	s_mov_b32 s0, 0xdaa66d2b
	v_add_co_u32_e32 v26, vcc, s0, v12
	s_mov_b32 s0, 0x76cf5d0a
	v_add_co_u32_e32 v27, vcc, s0, v0
	s_mov_b32 s0, 0x9e3779b9
	v_alignbit_b32 v29, v3, v2, 2
	s_mov_b32 s62, 0xd2511f53
	v_add_co_u32_e32 v28, vcc, s0, v12
	v_mad_u64_u32 v[4:5], s[0:1], v29, s62, 0
	v_xor_b32_e32 v1, v5, v13
	v_xor_b32_e32 v1, v1, v15
	s_mov_b32 s63, 0xcd9e8d57
	v_mad_u64_u32 v[6:7], s[0:1], v1, s63, 0
	v_xor_b32_e32 v1, v28, v7
	v_mad_u64_u32 v[8:9], s[0:1], v14, s63, 0
	v_and_b32_e32 v18, 3, v2
	v_xor_b32_e32 v1, v1, v8
	v_xor_b32_e32 v2, v12, v9
	v_lshrrev_b32_e32 v30, 2, v3
	v_mad_u64_u32 v[10:11], s[0:1], v1, s62, 0
	v_xor_b32_e32 v2, v2, v30
	v_xor_b32_e32 v1, v27, v11
	v_mad_u64_u32 v[2:3], s[0:1], v2, s62, 0
	v_xor_b32_e32 v1, v1, v2
	v_mad_u64_u32 v[8:9], s[0:1], v1, s63, 0
	s_mov_b32 s0, 0xbb67ae85
	v_add_co_u32_e32 v31, vcc, s0, v0
	v_xor_b32_e32 v2, v31, v3
	v_xor_b32_e32 v2, v2, v4
	v_xor_b32_e32 v1, v26, v9
	v_mad_u64_u32 v[2:3], s[0:1], v2, s63, 0
	v_xor_b32_e32 v1, v1, v2
	v_mad_u64_u32 v[4:5], s[0:1], v1, s62, 0
	s_mov_b32 s0, 0x3c6ef372
	v_add_co_u32_e32 v32, vcc, s0, v12
	v_xor_b32_e32 v2, v32, v3
	;; [unrolled: 8-line block ×6, first 2 shown]
	v_add_co_u32_e32 v21, vcc, 0xdb3d7428, v0
	v_xor_b32_e32 v2, v2, v6
	v_xor_b32_e32 v1, v21, v5
	v_mad_u64_u32 v[2:3], s[0:1], v2, s62, 0
	v_xor_b32_e32 v1, v1, v2
	v_mad_u64_u32 v[6:7], s[0:1], v1, s63, 0
	s_mov_b32 s0, 0x1fd5c5a3
	v_add_co_u32_e32 v37, vcc, s0, v0
	v_xor_b32_e32 v0, v37, v3
	v_xor_b32_e32 v0, v0, v10
	v_mad_u64_u32 v[0:1], s[0:1], v0, s63, 0
	s_mov_b32 s0, 0xf1bbcdc8
	s_load_dwordx8 s[8:15], s[4:5], 0x30
	v_add_co_u32_e32 v38, vcc, s0, v12
	v_xor_b32_e32 v1, v38, v1
	v_xor_b32_e32 v1, v1, v8
	s_add_u32 s34, s4, 48
	v_mad_u64_u32 v[8:9], s[0:1], v1, s62, 0
	s_addc_u32 s35, s5, 0
	s_waitcnt lgkmcnt(0)
	s_add_i32 s0, s8, -1
	s_cmp_gt_u32 s0, 1
	s_cselect_b64 s[40:41], -1, 0
	s_cmp_lg_u32 s8, 0
	s_load_dwordx2 s[46:47], s[4:5], 0xf4
	s_load_dwordx4 s[28:31], s[4:5], 0x138
	s_cselect_b64 s[42:43], -1, 0
	s_add_u32 s44, s4, 0xf4
	s_addc_u32 s45, s5, 0
	s_min_u32 s1, s0, 15
	s_cmp_gt_u32 s8, 1
	s_cselect_b64 s[48:49], -1, 0
	s_add_i32 s1, s1, 1
	s_mov_b32 s8, s13
	s_waitcnt lgkmcnt(0)
	s_lshr_b32 s13, s31, 16
	s_and_b32 s15, s1, 3
	v_cvt_f32_f16_e32 v39, s31
	s_cmp_lg_u32 s0, 2
	s_cselect_b64 s[50:51], -1, 0
	s_and_b32 s64, s1, 28
	v_add_u32_e32 v19, 0x8ff34781, v12
	v_add_u32_e32 v20, 0x96a522ad, v13
	v_xor_b32_e32 v0, v7, v0
	v_xor_b32_e32 v1, v9, v4
	s_cmp_lg_u32 s15, 0
	s_mov_b32 s61, 0
	v_xor_b32_e32 v0, v19, v0
	v_xor_b32_e32 v2, v20, v1
	v_mov_b32_e32 v1, v6
	v_mov_b32_e32 v3, v8
	s_mov_b64 s[52:53], 0
	s_cselect_b64 s[54:55], -1, 0
	v_mov_b32_e32 v40, v14
	v_mov_b32_e32 v41, v15
	s_branch .LBB9_9
.LBB9_7:                                ;   in Loop: Header=BB9_9 Depth=1
	v_lshrrev_b32_e32 v0, 11, v3
	v_cvt_f64_u32_e32 v[0:1], v0
	v_ldexp_f64 v[0:1], v[0:1], 32
	v_cvt_f64_u32_e32 v[2:3], v2
	v_add_f64 v[0:1], v[0:1], v[2:3]
	v_mov_b32_e32 v2, 0
	v_mov_b32_e32 v3, 0x3ca00000
	v_fmac_f64_e32 v[2:3], 0x3ca00000, v[0:1]
	v_cvt_f32_f64_e32 v0, v[2:3]
	v_fma_mixlo_f16 v0, s30, v0, v39
	v_mov_b32_e32 v1, s31
	v_cmp_eq_f16_e32 vcc, s13, v0
	v_cndmask_b32_e32 v0, v0, v1, vcc
	global_store_short v8, v0, s[28:29]
.LBB9_8:                                ;   in Loop: Header=BB9_9 Depth=1
	s_or_b64 exec, exec, s[36:37]
	v_add_co_u32_e32 v14, vcc, s60, v14
	v_addc_co_u32_e32 v15, vcc, 0, v15, vcc
	v_mov_b32_e32 v7, v16
	v_cmp_le_i64_e32 vcc, s[26:27], v[14:15]
	v_pk_mov_b32 v[0:1], v[4:5], v[4:5] op_sel:[0,1]
	s_or_b64 s[52:53], vcc, s[52:53]
	v_pk_mov_b32 v[2:3], v[6:7], v[6:7] op_sel:[0,1]
	s_barrier
	s_andn2_b64 exec, exec, s[52:53]
	s_cbranch_execz .LBB9_50
.LBB9_9:                                ; =>This Loop Header: Depth=1
                                        ;     Child Loop BB9_24 Depth 2
                                        ;     Child Loop BB9_30 Depth 2
	;; [unrolled: 1-line block ×4, first 2 shown]
	v_add_co_u32_e32 v29, vcc, 1, v29
	v_cndmask_b32_e64 v4, 0, 1, vcc
	v_addc_co_u32_e32 v30, vcc, 0, v30, vcc
	v_cmp_eq_u32_e32 vcc, 0, v30
	v_cndmask_b32_e32 v4, 0, v4, vcc
	v_add_u32_e32 v40, v4, v40
	v_cmp_eq_u32_e32 vcc, 0, v40
	v_cndmask_b32_e32 v4, 0, v4, vcc
	v_add_u32_e32 v41, v4, v41
	v_mad_u64_u32 v[4:5], s[0:1], v29, s62, 0
	v_mad_u64_u32 v[6:7], s[0:1], v40, s63, 0
	v_xor_b32_e32 v5, v5, v13
	v_xor_b32_e32 v7, v7, v12
	v_xor_b32_e32 v5, v41, v5
	v_xor_b32_e32 v7, v30, v7
	v_mad_u64_u32 v[10:11], s[0:1], v5, s63, 0
	v_mad_u64_u32 v[8:9], s[0:1], v7, s62, 0
	v_xor_b32_e32 v5, v28, v11
	v_xor_b32_e32 v5, v5, v6
	v_xor_b32_e32 v6, v31, v9
	v_xor_b32_e32 v6, v6, v4
	;; [unrolled: 6-line block ×10, first 2 shown]
	v_mov_b32_e32 v5, v10
	v_mov_b32_e32 v6, v11
	v_cmp_lt_i32_e32 vcc, 1, v18
	s_and_saveexec_b64 s[0:1], vcc
	s_xor_b64 s[0:1], exec, s[0:1]
	s_cbranch_execz .LBB9_15
; %bb.10:                               ;   in Loop: Header=BB9_9 Depth=1
	v_cmp_lt_i32_e32 vcc, 2, v18
	s_and_saveexec_b64 s[2:3], vcc
	s_xor_b64 s[2:3], exec, s[2:3]
; %bb.11:                               ;   in Loop: Header=BB9_9 Depth=1
	v_mov_b32_e32 v8, v3
	v_mov_b32_e32 v9, v4
	v_pk_mov_b32 v[0:1], v[8:9], v[8:9] op_sel:[0,1]
	v_pk_mov_b32 v[2:3], v[10:11], v[10:11] op_sel:[0,1]
                                        ; implicit-def: $vgpr10_vgpr11
; %bb.12:                               ;   in Loop: Header=BB9_9 Depth=1
	s_andn2_saveexec_b64 s[2:3], s[2:3]
; %bb.13:                               ;   in Loop: Header=BB9_9 Depth=1
	v_mov_b32_e32 v0, v2
	v_mov_b32_e32 v1, v3
	;; [unrolled: 1-line block ×4, first 2 shown]
; %bb.14:                               ;   in Loop: Header=BB9_9 Depth=1
	s_or_b64 exec, exec, s[2:3]
.LBB9_15:                               ;   in Loop: Header=BB9_9 Depth=1
	s_andn2_saveexec_b64 s[0:1], s[0:1]
	s_cbranch_execz .LBB9_19
; %bb.16:                               ;   in Loop: Header=BB9_9 Depth=1
	v_cmp_eq_u32_e32 vcc, 1, v18
	s_and_saveexec_b64 s[2:3], vcc
; %bb.17:                               ;   in Loop: Header=BB9_9 Depth=1
	v_mov_b32_e32 v0, v1
	v_mov_b32_e32 v1, v2
	;; [unrolled: 1-line block ×4, first 2 shown]
; %bb.18:                               ;   in Loop: Header=BB9_9 Depth=1
	s_or_b64 exec, exec, s[2:3]
.LBB9_19:                               ;   in Loop: Header=BB9_9 Depth=1
	s_or_b64 exec, exec, s[0:1]
	v_cndmask_b32_e64 v7, 0, 1, s[40:41]
	v_cmp_gt_i64_e32 vcc, s[24:25], v[14:15]
	v_cmp_ne_u32_e64 s[0:1], 1, v7
	s_and_saveexec_b64 s[2:3], vcc
	s_cbranch_execz .LBB9_35
; %bb.20:                               ;   in Loop: Header=BB9_9 Depth=1
	s_and_b64 vcc, exec, s[0:1]
	s_cbranch_vccnz .LBB9_26
; %bb.21:                               ;   in Loop: Header=BB9_9 Depth=1
	s_andn2_b64 vcc, exec, s[42:43]
	s_cbranch_vccnz .LBB9_27
; %bb.22:                               ;   in Loop: Header=BB9_9 Depth=1
	s_mov_b32 s6, 0
	s_andn2_b64 vcc, exec, s[50:51]
	v_mov_b32_e32 v8, 0
	s_cbranch_vccnz .LBB9_28
; %bb.23:                               ;   in Loop: Header=BB9_9 Depth=1
	s_mov_b32 s65, 0
	v_mov_b32_e32 v8, 0
	s_mov_b64 s[56:57], s[34:35]
	s_mov_b64 s[58:59], s[44:45]
	v_mov_b32_e32 v7, v14
.LBB9_24:                               ;   Parent Loop BB9_9 Depth=1
                                        ; =>  This Inner Loop Header: Depth=2
	s_load_dwordx8 s[16:23], s[56:57], 0x4
	s_load_dwordx4 s[4:7], s[56:57], 0x24
	s_load_dwordx4 s[36:39], s[58:59], 0x0
	s_add_u32 s56, s56, 48
	s_addc_u32 s57, s57, 0
	s_waitcnt lgkmcnt(0)
	v_mul_hi_u32 v9, s17, v7
	v_add_u32_e32 v9, v7, v9
	v_lshrrev_b32_e32 v9, s18, v9
	v_mul_lo_u32 v10, v9, s16
	v_mul_hi_u32 v11, s20, v9
	v_sub_u32_e32 v7, v7, v10
	v_add_u32_e32 v10, v9, v11
	v_lshrrev_b32_e32 v10, s21, v10
	v_mul_lo_u32 v11, v10, s19
	v_mul_hi_u32 v17, s23, v10
	v_sub_u32_e32 v9, v9, v11
	v_add_u32_e32 v11, v10, v17
	v_mul_lo_u32 v7, v7, s36
	v_mul_lo_u32 v9, v9, s37
	v_lshrrev_b32_e32 v11, s4, v11
	v_add3_u32 v8, v7, v8, v9
	v_mul_lo_u32 v7, v11, s22
	v_mul_hi_u32 v9, s6, v11
	v_sub_u32_e32 v7, v10, v7
	v_add_u32_e32 v9, v11, v9
	v_mul_lo_u32 v10, v7, s38
	v_lshrrev_b32_e32 v7, s7, v9
	s_add_i32 s65, s65, 4
	v_mul_lo_u32 v9, v7, s5
	s_add_u32 s58, s58, 16
	v_sub_u32_e32 v9, v11, v9
	s_addc_u32 s59, s59, 0
	v_mul_lo_u32 v9, v9, s39
	s_cmp_lg_u32 s64, s65
	v_add3_u32 v8, v10, v8, v9
	s_cbranch_scc1 .LBB9_24
; %bb.25:                               ;   in Loop: Header=BB9_9 Depth=1
	s_mov_b32 s6, s64
	s_andn2_b64 vcc, exec, s[54:55]
	s_cbranch_vccz .LBB9_29
	s_branch .LBB9_31
.LBB9_26:                               ;   in Loop: Header=BB9_9 Depth=1
                                        ; implicit-def: $vgpr8
	s_branch .LBB9_32
.LBB9_27:                               ;   in Loop: Header=BB9_9 Depth=1
	v_mov_b32_e32 v8, 0
	s_branch .LBB9_31
.LBB9_28:                               ;   in Loop: Header=BB9_9 Depth=1
	v_mov_b32_e32 v7, v14
	s_andn2_b64 vcc, exec, s[54:55]
	s_cbranch_vccnz .LBB9_31
.LBB9_29:                               ;   in Loop: Header=BB9_9 Depth=1
	s_lshl_b32 s4, s6, 2
	s_add_u32 s4, s44, s4
	s_addc_u32 s5, s45, 0
	s_mul_i32 s6, s6, 12
	s_add_u32 s6, s34, s6
	s_addc_u32 s7, s35, 0
	s_mov_b32 s16, s15
.LBB9_30:                               ;   Parent Loop BB9_9 Depth=1
                                        ; =>  This Inner Loop Header: Depth=2
	s_load_dwordx2 s[18:19], s[6:7], 0x4
	s_load_dword s17, s[6:7], 0xc
	s_load_dword s20, s[4:5], 0x0
	s_add_u32 s6, s6, 12
	s_addc_u32 s7, s7, 0
	s_waitcnt lgkmcnt(0)
	v_mul_hi_u32 v9, s19, v7
	v_add_u32_e32 v9, v7, v9
	v_lshrrev_b32_e32 v9, s17, v9
	s_add_u32 s4, s4, 4
	v_mul_lo_u32 v10, v9, s18
	s_addc_u32 s5, s5, 0
	s_add_i32 s16, s16, -1
	v_sub_u32_e32 v10, v7, v10
	s_cmp_lg_u32 s16, 0
	v_mov_b32_e32 v7, v9
	v_mad_u64_u32 v[8:9], s[18:19], v10, s20, v[8:9]
	s_cbranch_scc1 .LBB9_30
.LBB9_31:                               ;   in Loop: Header=BB9_9 Depth=1
	s_cbranch_execnz .LBB9_34
.LBB9_32:                               ;   in Loop: Header=BB9_9 Depth=1
	v_mul_hi_u32 v7, v14, s10
	v_add_u32_e32 v7, v7, v14
	v_lshrrev_b32_e32 v7, s11, v7
	v_mul_lo_u32 v8, v7, s9
	v_sub_u32_e32 v8, v14, v8
	s_andn2_b64 vcc, exec, s[48:49]
	v_mul_lo_u32 v8, v8, s46
	s_cbranch_vccnz .LBB9_34
; %bb.33:                               ;   in Loop: Header=BB9_9 Depth=1
	v_mul_hi_u32 v9, s8, v7
	v_add_u32_e32 v9, v7, v9
	v_lshrrev_b32_e32 v9, s14, v9
	v_mul_lo_u32 v9, v9, s12
	v_sub_u32_e32 v7, v7, v9
	v_mad_u64_u32 v[8:9], s[4:5], v7, s47, v[8:9]
.LBB9_34:                               ;   in Loop: Header=BB9_9 Depth=1
	v_lshrrev_b32_e32 v1, 11, v1
	v_cvt_f64_u32_e32 v[10:11], v1
	v_ldexp_f64 v[10:11], v[10:11], 32
	v_cvt_f64_u32_e32 v[0:1], v0
	v_add_f64 v[0:1], v[10:11], v[0:1]
	v_mov_b32_e32 v10, 0
	v_mov_b32_e32 v11, 0x3ca00000
	v_fmac_f64_e32 v[10:11], 0x3ca00000, v[0:1]
	v_cvt_f32_f64_e32 v0, v[10:11]
	v_fma_mixlo_f16 v0, s30, v0, v39
	v_mov_b32_e32 v1, s31
	v_cmp_eq_f16_e32 vcc, s13, v0
	v_cndmask_b32_e32 v0, v0, v1, vcc
	global_store_short v8, v0, s[28:29]
.LBB9_35:                               ;   in Loop: Header=BB9_9 Depth=1
	s_or_b64 exec, exec, s[2:3]
	v_mov_b32_e32 v1, s61
	v_add_co_u32_e32 v0, vcc, s33, v14
	v_addc_co_u32_e32 v1, vcc, v15, v1, vcc
	v_cmp_gt_i64_e32 vcc, s[24:25], v[0:1]
	s_and_saveexec_b64 s[36:37], vcc
	s_cbranch_execz .LBB9_8
; %bb.36:                               ;   in Loop: Header=BB9_9 Depth=1
	s_and_b64 vcc, exec, s[0:1]
	s_cbranch_vccnz .LBB9_42
; %bb.37:                               ;   in Loop: Header=BB9_9 Depth=1
	s_andn2_b64 vcc, exec, s[42:43]
	s_cbranch_vccnz .LBB9_43
; %bb.38:                               ;   in Loop: Header=BB9_9 Depth=1
	s_mov_b32 s2, 0
	s_andn2_b64 vcc, exec, s[50:51]
	v_mov_b32_e32 v8, 0
	s_cbranch_vccnz .LBB9_44
; %bb.39:                               ;   in Loop: Header=BB9_9 Depth=1
	s_mov_b32 s58, 0
	v_mov_b32_e32 v8, 0
	s_mov_b64 s[38:39], s[34:35]
	s_mov_b64 s[56:57], s[44:45]
	v_mov_b32_e32 v1, v0
.LBB9_40:                               ;   Parent Loop BB9_9 Depth=1
                                        ; =>  This Inner Loop Header: Depth=2
	s_load_dwordx8 s[0:7], s[38:39], 0x4
	s_load_dwordx4 s[16:19], s[38:39], 0x24
	s_load_dwordx4 s[20:23], s[56:57], 0x0
	s_add_u32 s38, s38, 48
	s_addc_u32 s39, s39, 0
	s_waitcnt lgkmcnt(0)
	v_mul_hi_u32 v7, s1, v1
	v_add_u32_e32 v7, v1, v7
	v_lshrrev_b32_e32 v7, s2, v7
	v_mul_lo_u32 v9, v7, s0
	v_mul_hi_u32 v10, s4, v7
	v_sub_u32_e32 v1, v1, v9
	v_add_u32_e32 v9, v7, v10
	v_lshrrev_b32_e32 v9, s5, v9
	v_mul_lo_u32 v10, v9, s3
	v_mul_hi_u32 v11, s7, v9
	v_sub_u32_e32 v7, v7, v10
	v_add_u32_e32 v10, v9, v11
	v_mul_lo_u32 v1, v1, s20
	v_mul_lo_u32 v7, v7, s21
	v_lshrrev_b32_e32 v10, s16, v10
	v_add3_u32 v7, v1, v8, v7
	v_mul_lo_u32 v1, v10, s6
	v_mul_hi_u32 v8, s18, v10
	v_sub_u32_e32 v1, v9, v1
	v_add_u32_e32 v8, v10, v8
	v_mul_lo_u32 v9, v1, s22
	v_lshrrev_b32_e32 v1, s19, v8
	s_add_i32 s58, s58, 4
	v_mul_lo_u32 v8, v1, s17
	s_add_u32 s56, s56, 16
	v_sub_u32_e32 v8, v10, v8
	s_addc_u32 s57, s57, 0
	v_mul_lo_u32 v8, v8, s23
	s_cmp_eq_u32 s64, s58
	v_add3_u32 v8, v9, v7, v8
	s_cbranch_scc0 .LBB9_40
; %bb.41:                               ;   in Loop: Header=BB9_9 Depth=1
	s_mov_b32 s2, s64
	s_andn2_b64 vcc, exec, s[54:55]
	s_cbranch_vccz .LBB9_45
	s_branch .LBB9_47
.LBB9_42:                               ;   in Loop: Header=BB9_9 Depth=1
                                        ; implicit-def: $vgpr8
	s_branch .LBB9_48
.LBB9_43:                               ;   in Loop: Header=BB9_9 Depth=1
	v_mov_b32_e32 v8, 0
	s_branch .LBB9_47
.LBB9_44:                               ;   in Loop: Header=BB9_9 Depth=1
	v_mov_b32_e32 v1, v0
	s_andn2_b64 vcc, exec, s[54:55]
	s_cbranch_vccnz .LBB9_47
.LBB9_45:                               ;   in Loop: Header=BB9_9 Depth=1
	s_lshl_b32 s0, s2, 2
	s_add_u32 s0, s44, s0
	s_addc_u32 s1, s45, 0
	s_mul_i32 s2, s2, 12
	s_add_u32 s2, s34, s2
	s_addc_u32 s3, s35, 0
	s_mov_b32 s4, s15
.LBB9_46:                               ;   Parent Loop BB9_9 Depth=1
                                        ; =>  This Inner Loop Header: Depth=2
	s_load_dwordx2 s[6:7], s[2:3], 0x4
	s_load_dword s5, s[2:3], 0xc
	s_load_dword s16, s[0:1], 0x0
	s_add_u32 s2, s2, 12
	s_addc_u32 s3, s3, 0
	s_waitcnt lgkmcnt(0)
	v_mul_hi_u32 v7, s7, v1
	v_add_u32_e32 v7, v1, v7
	v_lshrrev_b32_e32 v7, s5, v7
	s_add_u32 s0, s0, 4
	v_mul_lo_u32 v9, v7, s6
	s_addc_u32 s1, s1, 0
	s_add_i32 s4, s4, -1
	v_sub_u32_e32 v9, v1, v9
	s_cmp_lg_u32 s4, 0
	v_mov_b32_e32 v1, v7
	v_mad_u64_u32 v[8:9], s[6:7], v9, s16, v[8:9]
	s_cbranch_scc1 .LBB9_46
.LBB9_47:                               ;   in Loop: Header=BB9_9 Depth=1
	s_cbranch_execnz .LBB9_7
.LBB9_48:                               ;   in Loop: Header=BB9_9 Depth=1
	v_mul_hi_u32 v1, v0, s10
	v_add_u32_e32 v1, v1, v0
	v_lshrrev_b32_e32 v1, s11, v1
	v_mul_lo_u32 v7, v1, s9
	v_sub_u32_e32 v0, v0, v7
	s_andn2_b64 vcc, exec, s[48:49]
	v_mul_lo_u32 v8, v0, s46
	s_cbranch_vccnz .LBB9_7
; %bb.49:                               ;   in Loop: Header=BB9_9 Depth=1
	v_mul_hi_u32 v0, s8, v1
	v_add_u32_e32 v0, v1, v0
	v_lshrrev_b32_e32 v0, s14, v0
	v_mul_lo_u32 v0, v0, s12
	v_sub_u32_e32 v0, v1, v0
	v_mad_u64_u32 v[8:9], s[0:1], v0, s47, v[8:9]
	s_branch .LBB9_7
.LBB9_50:
	s_endpgm
.LBB9_51:
                                        ; implicit-def: $sgpr2_sgpr3
	s_andn2_b64 vcc, exec, s[0:1]
	s_cbranch_vccz .LBB9_4
	s_branch .LBB9_5
	.section	.rodata,"a",@progbits
	.p2align	6, 0x0
	.amdhsa_kernel _ZN2at6native12_GLOBAL__N_143distribution_elementwise_grid_stride_kernelIfLi4EZNS0_9templates4cuda21uniform_and_transformIN3c104HalfEfPNS_17CUDAGeneratorImplEZZZNS4_14uniform_kernelIS9_EEvRNS_18TensorIteratorBaseEddT_ENKUlvE_clEvENKUlvE1_clEvEUlfE_EEvSC_T1_T2_EUlP25hiprandStatePhilox4_32_10E_ZNS1_27distribution_nullary_kernelIS7_f15HIP_vector_typeIdLj2EES9_SL_SG_EEvSC_SI_RKT3_T4_EUlifE0_EEvlNS_15PhiloxCudaStateESH_SI_
		.amdhsa_group_segment_fixed_size 0
		.amdhsa_private_segment_fixed_size 0
		.amdhsa_kernarg_size 584
		.amdhsa_user_sgpr_count 6
		.amdhsa_user_sgpr_private_segment_buffer 1
		.amdhsa_user_sgpr_dispatch_ptr 0
		.amdhsa_user_sgpr_queue_ptr 0
		.amdhsa_user_sgpr_kernarg_segment_ptr 1
		.amdhsa_user_sgpr_dispatch_id 0
		.amdhsa_user_sgpr_flat_scratch_init 0
		.amdhsa_user_sgpr_kernarg_preload_length 0
		.amdhsa_user_sgpr_kernarg_preload_offset 0
		.amdhsa_user_sgpr_private_segment_size 0
		.amdhsa_uses_dynamic_stack 0
		.amdhsa_system_sgpr_private_segment_wavefront_offset 0
		.amdhsa_system_sgpr_workgroup_id_x 1
		.amdhsa_system_sgpr_workgroup_id_y 0
		.amdhsa_system_sgpr_workgroup_id_z 0
		.amdhsa_system_sgpr_workgroup_info 0
		.amdhsa_system_vgpr_workitem_id 0
		.amdhsa_next_free_vgpr 42
		.amdhsa_next_free_sgpr 66
		.amdhsa_accum_offset 44
		.amdhsa_reserve_vcc 1
		.amdhsa_reserve_flat_scratch 0
		.amdhsa_float_round_mode_32 0
		.amdhsa_float_round_mode_16_64 0
		.amdhsa_float_denorm_mode_32 3
		.amdhsa_float_denorm_mode_16_64 3
		.amdhsa_dx10_clamp 1
		.amdhsa_ieee_mode 1
		.amdhsa_fp16_overflow 0
		.amdhsa_tg_split 0
		.amdhsa_exception_fp_ieee_invalid_op 0
		.amdhsa_exception_fp_denorm_src 0
		.amdhsa_exception_fp_ieee_div_zero 0
		.amdhsa_exception_fp_ieee_overflow 0
		.amdhsa_exception_fp_ieee_underflow 0
		.amdhsa_exception_fp_ieee_inexact 0
		.amdhsa_exception_int_div_zero 0
	.end_amdhsa_kernel
	.section	.text._ZN2at6native12_GLOBAL__N_143distribution_elementwise_grid_stride_kernelIfLi4EZNS0_9templates4cuda21uniform_and_transformIN3c104HalfEfPNS_17CUDAGeneratorImplEZZZNS4_14uniform_kernelIS9_EEvRNS_18TensorIteratorBaseEddT_ENKUlvE_clEvENKUlvE1_clEvEUlfE_EEvSC_T1_T2_EUlP25hiprandStatePhilox4_32_10E_ZNS1_27distribution_nullary_kernelIS7_f15HIP_vector_typeIdLj2EES9_SL_SG_EEvSC_SI_RKT3_T4_EUlifE0_EEvlNS_15PhiloxCudaStateESH_SI_,"axG",@progbits,_ZN2at6native12_GLOBAL__N_143distribution_elementwise_grid_stride_kernelIfLi4EZNS0_9templates4cuda21uniform_and_transformIN3c104HalfEfPNS_17CUDAGeneratorImplEZZZNS4_14uniform_kernelIS9_EEvRNS_18TensorIteratorBaseEddT_ENKUlvE_clEvENKUlvE1_clEvEUlfE_EEvSC_T1_T2_EUlP25hiprandStatePhilox4_32_10E_ZNS1_27distribution_nullary_kernelIS7_f15HIP_vector_typeIdLj2EES9_SL_SG_EEvSC_SI_RKT3_T4_EUlifE0_EEvlNS_15PhiloxCudaStateESH_SI_,comdat
.Lfunc_end9:
	.size	_ZN2at6native12_GLOBAL__N_143distribution_elementwise_grid_stride_kernelIfLi4EZNS0_9templates4cuda21uniform_and_transformIN3c104HalfEfPNS_17CUDAGeneratorImplEZZZNS4_14uniform_kernelIS9_EEvRNS_18TensorIteratorBaseEddT_ENKUlvE_clEvENKUlvE1_clEvEUlfE_EEvSC_T1_T2_EUlP25hiprandStatePhilox4_32_10E_ZNS1_27distribution_nullary_kernelIS7_f15HIP_vector_typeIdLj2EES9_SL_SG_EEvSC_SI_RKT3_T4_EUlifE0_EEvlNS_15PhiloxCudaStateESH_SI_, .Lfunc_end9-_ZN2at6native12_GLOBAL__N_143distribution_elementwise_grid_stride_kernelIfLi4EZNS0_9templates4cuda21uniform_and_transformIN3c104HalfEfPNS_17CUDAGeneratorImplEZZZNS4_14uniform_kernelIS9_EEvRNS_18TensorIteratorBaseEddT_ENKUlvE_clEvENKUlvE1_clEvEUlfE_EEvSC_T1_T2_EUlP25hiprandStatePhilox4_32_10E_ZNS1_27distribution_nullary_kernelIS7_f15HIP_vector_typeIdLj2EES9_SL_SG_EEvSC_SI_RKT3_T4_EUlifE0_EEvlNS_15PhiloxCudaStateESH_SI_
                                        ; -- End function
	.section	.AMDGPU.csdata,"",@progbits
; Kernel info:
; codeLenInByte = 3332
; NumSgprs: 70
; NumVgprs: 42
; NumAgprs: 0
; TotalNumVgprs: 42
; ScratchSize: 0
; MemoryBound: 0
; FloatMode: 240
; IeeeMode: 1
; LDSByteSize: 0 bytes/workgroup (compile time only)
; SGPRBlocks: 8
; VGPRBlocks: 5
; NumSGPRsForWavesPerEU: 70
; NumVGPRsForWavesPerEU: 42
; AccumOffset: 44
; Occupancy: 8
; WaveLimiterHint : 1
; COMPUTE_PGM_RSRC2:SCRATCH_EN: 0
; COMPUTE_PGM_RSRC2:USER_SGPR: 6
; COMPUTE_PGM_RSRC2:TRAP_HANDLER: 0
; COMPUTE_PGM_RSRC2:TGID_X_EN: 1
; COMPUTE_PGM_RSRC2:TGID_Y_EN: 0
; COMPUTE_PGM_RSRC2:TGID_Z_EN: 0
; COMPUTE_PGM_RSRC2:TIDIG_COMP_CNT: 0
; COMPUTE_PGM_RSRC3_GFX90A:ACCUM_OFFSET: 10
; COMPUTE_PGM_RSRC3_GFX90A:TG_SPLIT: 0
	.section	.text._ZN2at6native12_GLOBAL__N_143distribution_elementwise_grid_stride_kernelIfLi4EZNS0_9templates4cuda21uniform_and_transformIN3c104HalfEfPNS_17CUDAGeneratorImplEZZZNS4_14uniform_kernelIS9_EEvRNS_18TensorIteratorBaseEddT_ENKUlvE_clEvENKUlvE1_clEvEUlfE_EEvSC_T1_T2_EUlP25hiprandStatePhilox4_32_10E0_ZNS1_27distribution_nullary_kernelIS7_f15HIP_vector_typeIfLj4EES9_SL_SG_EEvSC_SI_RKT3_T4_EUlifE_EEvlNS_15PhiloxCudaStateESH_SI_,"axG",@progbits,_ZN2at6native12_GLOBAL__N_143distribution_elementwise_grid_stride_kernelIfLi4EZNS0_9templates4cuda21uniform_and_transformIN3c104HalfEfPNS_17CUDAGeneratorImplEZZZNS4_14uniform_kernelIS9_EEvRNS_18TensorIteratorBaseEddT_ENKUlvE_clEvENKUlvE1_clEvEUlfE_EEvSC_T1_T2_EUlP25hiprandStatePhilox4_32_10E0_ZNS1_27distribution_nullary_kernelIS7_f15HIP_vector_typeIfLj4EES9_SL_SG_EEvSC_SI_RKT3_T4_EUlifE_EEvlNS_15PhiloxCudaStateESH_SI_,comdat
	.globl	_ZN2at6native12_GLOBAL__N_143distribution_elementwise_grid_stride_kernelIfLi4EZNS0_9templates4cuda21uniform_and_transformIN3c104HalfEfPNS_17CUDAGeneratorImplEZZZNS4_14uniform_kernelIS9_EEvRNS_18TensorIteratorBaseEddT_ENKUlvE_clEvENKUlvE1_clEvEUlfE_EEvSC_T1_T2_EUlP25hiprandStatePhilox4_32_10E0_ZNS1_27distribution_nullary_kernelIS7_f15HIP_vector_typeIfLj4EES9_SL_SG_EEvSC_SI_RKT3_T4_EUlifE_EEvlNS_15PhiloxCudaStateESH_SI_ ; -- Begin function _ZN2at6native12_GLOBAL__N_143distribution_elementwise_grid_stride_kernelIfLi4EZNS0_9templates4cuda21uniform_and_transformIN3c104HalfEfPNS_17CUDAGeneratorImplEZZZNS4_14uniform_kernelIS9_EEvRNS_18TensorIteratorBaseEddT_ENKUlvE_clEvENKUlvE1_clEvEUlfE_EEvSC_T1_T2_EUlP25hiprandStatePhilox4_32_10E0_ZNS1_27distribution_nullary_kernelIS7_f15HIP_vector_typeIfLj4EES9_SL_SG_EEvSC_SI_RKT3_T4_EUlifE_EEvlNS_15PhiloxCudaStateESH_SI_
	.p2align	8
	.type	_ZN2at6native12_GLOBAL__N_143distribution_elementwise_grid_stride_kernelIfLi4EZNS0_9templates4cuda21uniform_and_transformIN3c104HalfEfPNS_17CUDAGeneratorImplEZZZNS4_14uniform_kernelIS9_EEvRNS_18TensorIteratorBaseEddT_ENKUlvE_clEvENKUlvE1_clEvEUlfE_EEvSC_T1_T2_EUlP25hiprandStatePhilox4_32_10E0_ZNS1_27distribution_nullary_kernelIS7_f15HIP_vector_typeIfLj4EES9_SL_SG_EEvSC_SI_RKT3_T4_EUlifE_EEvlNS_15PhiloxCudaStateESH_SI_,@function
_ZN2at6native12_GLOBAL__N_143distribution_elementwise_grid_stride_kernelIfLi4EZNS0_9templates4cuda21uniform_and_transformIN3c104HalfEfPNS_17CUDAGeneratorImplEZZZNS4_14uniform_kernelIS9_EEvRNS_18TensorIteratorBaseEddT_ENKUlvE_clEvENKUlvE1_clEvEUlfE_EEvSC_T1_T2_EUlP25hiprandStatePhilox4_32_10E0_ZNS1_27distribution_nullary_kernelIS7_f15HIP_vector_typeIfLj4EES9_SL_SG_EEvSC_SI_RKT3_T4_EUlifE_EEvlNS_15PhiloxCudaStateESH_SI_: ; @_ZN2at6native12_GLOBAL__N_143distribution_elementwise_grid_stride_kernelIfLi4EZNS0_9templates4cuda21uniform_and_transformIN3c104HalfEfPNS_17CUDAGeneratorImplEZZZNS4_14uniform_kernelIS9_EEvRNS_18TensorIteratorBaseEddT_ENKUlvE_clEvENKUlvE1_clEvEUlfE_EEvSC_T1_T2_EUlP25hiprandStatePhilox4_32_10E0_ZNS1_27distribution_nullary_kernelIS7_f15HIP_vector_typeIfLj4EES9_SL_SG_EEvSC_SI_RKT3_T4_EUlifE_EEvlNS_15PhiloxCudaStateESH_SI_
; %bb.0:
	s_load_dword s7, s[4:5], 0x20
	s_load_dwordx2 s[10:11], s[4:5], 0x10
	s_load_dwordx4 s[0:3], s[4:5], 0x0
	s_mov_b32 s8, 0
	s_waitcnt lgkmcnt(0)
	s_bitcmp0_b32 s7, 0
	v_pk_mov_b32 v[2:3], s[10:11], s[10:11] op_sel:[0,1]
	v_pk_mov_b32 v[14:15], s[2:3], s[2:3] op_sel:[0,1]
	s_cbranch_scc1 .LBB10_2
; %bb.1:
	v_pk_mov_b32 v[2:3], s[10:11], s[10:11] op_sel:[0,1]
	flat_load_dwordx2 v[2:3], v[2:3]
	v_pk_mov_b32 v[4:5], s[2:3], s[2:3] op_sel:[0,1]
	flat_load_dwordx2 v[14:15], v[4:5]
	s_load_dwordx2 s[2:3], s[4:5], 0x18
	s_waitcnt lgkmcnt(0)
	v_mov_b32_e32 v1, s3
	s_waitcnt vmcnt(0)
	v_add_co_u32_e32 v2, vcc, s2, v2
	v_addc_co_u32_e32 v3, vcc, v3, v1, vcc
.LBB10_2:
	s_load_dword s2, s[4:5], 0x54
	s_load_dword s12, s[4:5], 0x48
	s_waitcnt lgkmcnt(0)
	s_and_b32 s7, s2, 0xffff
	s_add_u32 s10, s0, -1
	s_mul_i32 s14, s12, s7
	s_addc_u32 s9, s1, -1
	s_lshl_b32 s15, s14, 2
	s_cmp_lg_u64 s[8:9], 0
	s_mov_b64 s[2:3], -1
	s_cbranch_scc0 .LBB10_27
; %bb.3:
	v_cvt_f32_u32_e32 v1, s15
	v_cvt_f32_ubyte0_e32 v4, 0
	s_sub_u32 s8, 0, s15
	s_subb_u32 s11, 0, 0
	v_madmk_f32 v1, v4, 0x4f800000, v1
	v_rcp_f32_e32 v1, v1
	v_mul_f32_e32 v1, 0x5f7ffffc, v1
	v_mul_f32_e32 v4, 0x2f800000, v1
	v_trunc_f32_e32 v4, v4
	v_madmk_f32 v1, v4, 0xcf800000, v1
	v_cvt_u32_f32_e32 v4, v4
	v_cvt_u32_f32_e32 v1, v1
	v_readfirstlane_b32 s13, v4
	v_readfirstlane_b32 s16, v1
	s_mul_i32 s17, s8, s13
	s_mul_hi_u32 s19, s8, s16
	s_mul_i32 s18, s11, s16
	s_add_i32 s17, s19, s17
	s_add_i32 s17, s17, s18
	s_mul_i32 s20, s8, s16
	s_mul_hi_u32 s18, s16, s17
	s_mul_i32 s19, s16, s17
	s_mul_hi_u32 s16, s16, s20
	s_add_u32 s16, s16, s19
	s_addc_u32 s18, 0, s18
	s_mul_hi_u32 s21, s13, s20
	s_mul_i32 s20, s13, s20
	s_add_u32 s16, s16, s20
	s_mul_hi_u32 s19, s13, s17
	s_addc_u32 s16, s18, s21
	s_addc_u32 s18, s19, 0
	s_mul_i32 s17, s13, s17
	s_add_u32 s16, s16, s17
	s_addc_u32 s17, 0, s18
	v_add_co_u32_e32 v1, vcc, s16, v1
	s_cmp_lg_u64 vcc, 0
	s_addc_u32 s13, s13, s17
	v_readfirstlane_b32 s17, v1
	s_mul_i32 s16, s8, s13
	s_mul_hi_u32 s18, s8, s17
	s_add_i32 s16, s18, s16
	s_mul_i32 s11, s11, s17
	s_add_i32 s16, s16, s11
	s_mul_i32 s8, s8, s17
	s_mul_hi_u32 s18, s13, s8
	s_mul_i32 s19, s13, s8
	s_mul_i32 s21, s17, s16
	s_mul_hi_u32 s8, s17, s8
	s_mul_hi_u32 s20, s17, s16
	s_add_u32 s8, s8, s21
	s_addc_u32 s17, 0, s20
	s_add_u32 s8, s8, s19
	s_mul_hi_u32 s11, s13, s16
	s_addc_u32 s8, s17, s18
	s_addc_u32 s11, s11, 0
	s_mul_i32 s16, s13, s16
	s_add_u32 s8, s8, s16
	s_addc_u32 s11, 0, s11
	v_add_co_u32_e32 v1, vcc, s8, v1
	s_cmp_lg_u64 vcc, 0
	s_addc_u32 s11, s13, s11
	s_ashr_i32 s16, s9, 31
	s_add_u32 s8, s10, s16
	s_mov_b32 s17, s16
	s_addc_u32 s9, s9, s16
	s_xor_b64 s[8:9], s[8:9], s[16:17]
	v_readfirstlane_b32 s19, v1
	s_mul_i32 s18, s8, s11
	s_mul_hi_u32 s20, s8, s19
	s_mul_hi_u32 s13, s8, s11
	s_add_u32 s18, s20, s18
	s_addc_u32 s13, 0, s13
	s_mul_hi_u32 s21, s9, s19
	s_mul_i32 s19, s9, s19
	s_add_u32 s18, s18, s19
	s_mul_hi_u32 s20, s9, s11
	s_addc_u32 s13, s13, s21
	s_addc_u32 s18, s20, 0
	s_mul_i32 s11, s9, s11
	s_add_u32 s11, s13, s11
	s_addc_u32 s13, 0, s18
	s_add_u32 s18, s11, 1
	s_addc_u32 s19, s13, 0
	s_add_u32 s20, s11, 2
	s_mul_i32 s22, s15, s13
	s_mul_hi_u32 s23, s15, s11
	s_addc_u32 s21, s13, 0
	s_add_i32 s23, s23, s22
	s_mul_i32 s22, s15, s11
	v_mov_b32_e32 v1, s22
	v_sub_co_u32_e32 v1, vcc, s8, v1
	s_cmp_lg_u64 vcc, 0
	s_subb_u32 s8, s9, s23
	v_subrev_co_u32_e32 v4, vcc, s15, v1
	s_cmp_lg_u64 vcc, 0
	s_subb_u32 s9, s8, 0
	v_readfirstlane_b32 s22, v4
	s_cmp_ge_u32 s22, s15
	s_cselect_b32 s22, -1, 0
	s_cmp_eq_u32 s9, 0
	s_cselect_b32 s9, s22, -1
	s_cmp_lg_u32 s9, 0
	s_cselect_b32 s9, s21, s19
	v_readfirstlane_b32 s19, v1
	s_cselect_b32 s18, s20, s18
	s_cmp_ge_u32 s19, s15
	s_cselect_b32 s19, -1, 0
	s_cmp_eq_u32 s8, 0
	s_cselect_b32 s8, s19, -1
	s_cmp_lg_u32 s8, 0
	s_cselect_b32 s9, s9, s13
	s_cselect_b32 s8, s18, s11
	s_xor_b64 s[8:9], s[8:9], s[16:17]
	s_sub_u32 s8, s8, s16
	s_subb_u32 s9, s9, s16
	s_cbranch_execnz .LBB10_5
.LBB10_4:
	v_cvt_f32_u32_e32 v1, s15
	s_sub_i32 s2, 0, s15
	s_mov_b32 s9, 0
	v_rcp_iflag_f32_e32 v1, v1
	v_mul_f32_e32 v1, 0x4f7ffffe, v1
	v_cvt_u32_f32_e32 v1, v1
	v_readfirstlane_b32 s3, v1
	s_mul_i32 s2, s2, s3
	s_mul_hi_u32 s2, s3, s2
	s_add_i32 s3, s3, s2
	s_mul_hi_u32 s2, s10, s3
	s_mul_i32 s8, s2, s15
	s_sub_i32 s8, s10, s8
	s_add_i32 s3, s2, 1
	s_sub_i32 s10, s8, s15
	s_cmp_ge_u32 s8, s15
	s_cselect_b32 s2, s3, s2
	s_cselect_b32 s8, s10, s8
	s_add_i32 s3, s2, 1
	s_cmp_ge_u32 s8, s15
	s_cselect_b32 s8, s3, s2
.LBB10_5:
	v_mov_b32_e32 v1, 0
	v_mov_b32_e32 v4, s6
	v_mad_u64_u32 v[16:17], s[2:3], s7, v4, v[0:1]
	s_add_u32 s2, s8, 1
	s_addc_u32 s3, s9, 0
	s_mul_hi_u32 s8, s12, s7
	s_mul_i32 s3, s14, s3
	s_mul_hi_u32 s9, s14, s2
	s_add_i32 s3, s9, s3
	s_mul_i32 s8, s8, s2
	s_add_i32 s3, s3, s8
	s_mul_i32 s2, s14, s2
	s_lshl_b64 s[2:3], s[2:3], 2
	v_cmp_gt_i64_e32 vcc, s[2:3], v[16:17]
	s_and_saveexec_b64 s[8:9], vcc
	s_cbranch_execz .LBB10_26
; %bb.6:
	s_load_dwordx4 s[8:11], s[4:5], 0x30
	s_load_dword s16, s[4:5], 0x40
	s_mov_b32 s4, 0x5384540f
	v_mov_b32_e32 v4, v15
	v_add_co_u32_e32 v22, vcc, s4, v14
	s_mov_b32 s4, 0x646e171e
	v_add_co_u32_e32 v23, vcc, s4, v4
	s_mov_b32 s4, 0x1715609d
	;; [unrolled: 2-line block ×6, first 2 shown]
	v_alignbit_b32 v29, v3, v2, 2
	s_mov_b32 s19, 0xd2511f53
	v_add_co_u32_e32 v28, vcc, s4, v14
	v_mad_u64_u32 v[6:7], s[4:5], v29, s19, 0
	v_xor_b32_e32 v1, v7, v15
	v_xor_b32_e32 v1, v1, v17
	s_mov_b32 s20, 0xcd9e8d57
	v_mad_u64_u32 v[8:9], s[4:5], v1, s20, 0
	v_xor_b32_e32 v1, v28, v9
	v_mad_u64_u32 v[10:11], s[4:5], v16, s20, 0
	v_and_b32_e32 v18, 3, v2
	v_xor_b32_e32 v1, v1, v10
	v_xor_b32_e32 v2, v14, v11
	v_lshrrev_b32_e32 v30, 2, v3
	v_mad_u64_u32 v[12:13], s[4:5], v1, s19, 0
	v_xor_b32_e32 v2, v2, v30
	v_xor_b32_e32 v1, v27, v13
	v_mad_u64_u32 v[2:3], s[4:5], v2, s19, 0
	v_xor_b32_e32 v1, v1, v2
	v_mad_u64_u32 v[10:11], s[4:5], v1, s20, 0
	s_mov_b32 s4, 0xbb67ae85
	v_add_co_u32_e32 v31, vcc, s4, v4
	v_xor_b32_e32 v2, v31, v3
	v_xor_b32_e32 v2, v2, v6
	v_xor_b32_e32 v1, v26, v11
	v_mad_u64_u32 v[2:3], s[4:5], v2, s20, 0
	v_xor_b32_e32 v1, v1, v2
	v_mad_u64_u32 v[6:7], s[4:5], v1, s19, 0
	s_mov_b32 s4, 0x3c6ef372
	v_add_co_u32_e32 v32, vcc, s4, v14
	v_xor_b32_e32 v2, v32, v3
	;; [unrolled: 8-line block ×6, first 2 shown]
	v_add_co_u32_e32 v21, vcc, 0xdb3d7428, v4
	v_xor_b32_e32 v2, v2, v8
	v_xor_b32_e32 v1, v21, v7
	v_mad_u64_u32 v[2:3], s[4:5], v2, s19, 0
	v_xor_b32_e32 v1, v1, v2
	v_mad_u64_u32 v[8:9], s[4:5], v1, s20, 0
	s_mov_b32 s4, 0x1fd5c5a3
	v_add_co_u32_e32 v37, vcc, s4, v4
	v_xor_b32_e32 v1, v37, v3
	v_xor_b32_e32 v1, v1, v12
	v_mad_u64_u32 v[2:3], s[4:5], v1, s20, 0
	s_mov_b32 s4, 0xf1bbcdc8
	v_add_u32_e32 v19, 0x8ff34781, v14
	v_xor_b32_e32 v1, v9, v2
	v_add_co_u32_e32 v38, vcc, s4, v14
	v_xor_b32_e32 v2, v19, v1
	v_xor_b32_e32 v1, v38, v3
	;; [unrolled: 1-line block ×3, first 2 shown]
	v_mad_u64_u32 v[10:11], s[4:5], v1, s19, 0
	v_add_u32_e32 v20, 0x96a522ad, v15
	v_xor_b32_e32 v1, v11, v6
	s_mul_i32 s4, s6, s7
	v_xor_b32_e32 v4, v20, v1
	v_add_u32_e32 v1, s4, v0
	s_waitcnt lgkmcnt(0)
	s_mul_i32 s4, s12, s10
	s_mul_i32 s4, s4, s7
	s_lshl_b32 s25, s4, 2
	s_mul_i32 s4, s12, 3
	s_add_i32 s4, s6, s4
	s_mul_i32 s4, s4, s7
	v_mul_lo_u32 v40, s10, v1
	v_add_u32_e32 v1, s4, v0
	s_lshl_b32 s4, s12, 1
	s_add_i32 s4, s6, s4
	s_mul_i32 s4, s4, s7
	v_cvt_f32_f16_e32 v39, s16
	v_mul_lo_u32 v41, s10, v1
	v_add_u32_e32 v1, s4, v0
	s_add_i32 s4, s6, s12
	s_mul_i32 s4, s4, s7
	s_mov_b32 s17, 0
	v_add_u32_e32 v0, s4, v0
	s_lshr_b32 s18, s16, 16
	v_mov_b32_e32 v3, v8
	v_mov_b32_e32 v5, v10
	s_lshl_b32 s21, s14, 1
	s_mov_b32 s22, s17
	s_mul_i32 s23, s14, 3
	s_mov_b32 s24, s17
	v_mul_lo_u32 v42, s10, v1
	v_mul_lo_u32 v43, s10, v0
	s_mov_b64 s[4:5], 0
	s_mov_b32 s10, s17
	v_mov_b32_e32 v44, v16
	v_mov_b32_e32 v45, v17
	s_branch .LBB10_8
.LBB10_7:                               ;   in Loop: Header=BB10_8 Depth=1
	s_or_b64 exec, exec, s[6:7]
	v_add_co_u32_e32 v16, vcc, s15, v16
	v_addc_co_u32_e32 v17, vcc, 0, v17, vcc
	v_mov_b32_e32 v9, v0
	s_add_i32 s10, s10, s25
	v_cmp_le_i64_e32 vcc, s[2:3], v[16:17]
	v_pk_mov_b32 v[2:3], v[6:7], v[6:7] op_sel:[0,1]
	s_or_b64 s[4:5], vcc, s[4:5]
	v_pk_mov_b32 v[4:5], v[8:9], v[8:9] op_sel:[0,1]
	s_barrier
	s_andn2_b64 exec, exec, s[4:5]
	s_cbranch_execz .LBB10_26
.LBB10_8:                               ; =>This Inner Loop Header: Depth=1
	v_add_co_u32_e32 v29, vcc, 1, v29
	v_cndmask_b32_e64 v0, 0, 1, vcc
	v_addc_co_u32_e32 v30, vcc, 0, v30, vcc
	v_cmp_eq_u32_e32 vcc, 0, v30
	v_cndmask_b32_e32 v0, 0, v0, vcc
	v_add_u32_e32 v44, v0, v44
	v_cmp_eq_u32_e32 vcc, 0, v44
	v_cndmask_b32_e32 v0, 0, v0, vcc
	v_add_u32_e32 v45, v0, v45
	v_mad_u64_u32 v[0:1], s[6:7], v29, s19, 0
	v_mad_u64_u32 v[6:7], s[6:7], v44, s20, 0
	v_xor_b32_e32 v1, v1, v15
	v_xor_b32_e32 v7, v7, v14
	v_xor_b32_e32 v1, v45, v1
	v_xor_b32_e32 v7, v30, v7
	v_mad_u64_u32 v[10:11], s[6:7], v1, s20, 0
	v_mad_u64_u32 v[8:9], s[6:7], v7, s19, 0
	v_xor_b32_e32 v1, v28, v11
	v_xor_b32_e32 v1, v1, v6
	v_xor_b32_e32 v6, v31, v9
	v_xor_b32_e32 v6, v6, v0
	;; [unrolled: 6-line block ×10, first 2 shown]
	v_mov_b32_e32 v7, v12
	v_mov_b32_e32 v8, v13
	v_cmp_lt_i32_e32 vcc, 1, v18
	s_and_saveexec_b64 s[6:7], vcc
	s_xor_b64 s[6:7], exec, s[6:7]
	s_cbranch_execnz .LBB10_18
; %bb.9:                                ;   in Loop: Header=BB10_8 Depth=1
	s_andn2_saveexec_b64 s[6:7], s[6:7]
	s_cbranch_execnz .LBB10_23
.LBB10_10:                              ;   in Loop: Header=BB10_8 Depth=1
	s_or_b64 exec, exec, s[6:7]
	v_cmp_gt_i64_e32 vcc, s[0:1], v[16:17]
	s_and_saveexec_b64 s[6:7], vcc
	s_cbranch_execz .LBB10_12
.LBB10_11:                              ;   in Loop: Header=BB10_8 Depth=1
	v_cvt_f32_u32_e32 v1, v2
	v_mov_b32_e32 v2, 0x2f800000
	v_add_u32_e32 v9, s10, v40
	v_ashrrev_i32_e32 v11, 31, v9
	v_fmac_f32_e32 v2, 0x2f800000, v1
	v_mov_b32_e32 v1, s9
	v_add_co_u32_e32 v10, vcc, s8, v9
	v_addc_co_u32_e32 v11, vcc, v1, v11, vcc
	v_fma_mixlo_f16 v1, s11, v2, v39
	v_mov_b32_e32 v2, s16
	v_cmp_eq_f16_e32 vcc, s18, v1
	v_cndmask_b32_e32 v1, v1, v2, vcc
	global_store_short v[10:11], v1, off
.LBB10_12:                              ;   in Loop: Header=BB10_8 Depth=1
	s_or_b64 exec, exec, s[6:7]
	v_mov_b32_e32 v1, s17
	v_add_co_u32_e32 v10, vcc, s14, v16
	v_addc_co_u32_e32 v11, vcc, v1, v17, vcc
	v_cmp_gt_i64_e32 vcc, s[0:1], v[10:11]
	s_and_saveexec_b64 s[6:7], vcc
	s_cbranch_execz .LBB10_14
; %bb.13:                               ;   in Loop: Header=BB10_8 Depth=1
	v_cvt_f32_u32_e32 v1, v3
	v_mov_b32_e32 v9, 0x2f800000
	v_add_u32_e32 v2, s10, v43
	v_ashrrev_i32_e32 v3, 31, v2
	v_fmac_f32_e32 v9, 0x2f800000, v1
	v_mov_b32_e32 v1, s9
	v_add_co_u32_e32 v2, vcc, s8, v2
	v_addc_co_u32_e32 v3, vcc, v1, v3, vcc
	v_fma_mixlo_f16 v1, s11, v9, v39
	v_mov_b32_e32 v9, s16
	v_cmp_eq_f16_e32 vcc, s18, v1
	v_cndmask_b32_e32 v1, v1, v9, vcc
	global_store_short v[2:3], v1, off
.LBB10_14:                              ;   in Loop: Header=BB10_8 Depth=1
	s_or_b64 exec, exec, s[6:7]
	v_mov_b32_e32 v1, s22
	v_add_co_u32_e32 v2, vcc, s21, v16
	v_addc_co_u32_e32 v3, vcc, v1, v17, vcc
	v_cmp_gt_i64_e32 vcc, s[0:1], v[2:3]
	s_and_saveexec_b64 s[6:7], vcc
	s_cbranch_execz .LBB10_16
; %bb.15:                               ;   in Loop: Header=BB10_8 Depth=1
	v_cvt_f32_u32_e32 v1, v4
	v_mov_b32_e32 v4, 0x2f800000
	v_add_u32_e32 v2, s10, v42
	v_ashrrev_i32_e32 v3, 31, v2
	v_fmac_f32_e32 v4, 0x2f800000, v1
	v_mov_b32_e32 v1, s9
	v_add_co_u32_e32 v2, vcc, s8, v2
	v_addc_co_u32_e32 v3, vcc, v1, v3, vcc
	v_fma_mixlo_f16 v1, s11, v4, v39
	v_mov_b32_e32 v4, s16
	v_cmp_eq_f16_e32 vcc, s18, v1
	v_cndmask_b32_e32 v1, v1, v4, vcc
	global_store_short v[2:3], v1, off
.LBB10_16:                              ;   in Loop: Header=BB10_8 Depth=1
	s_or_b64 exec, exec, s[6:7]
	v_mov_b32_e32 v1, s24
	v_add_co_u32_e32 v2, vcc, s23, v16
	v_addc_co_u32_e32 v3, vcc, v1, v17, vcc
	v_cmp_gt_i64_e32 vcc, s[0:1], v[2:3]
	s_and_saveexec_b64 s[6:7], vcc
	s_cbranch_execz .LBB10_7
; %bb.17:                               ;   in Loop: Header=BB10_8 Depth=1
	v_cvt_f32_u32_e32 v1, v5
	v_mov_b32_e32 v4, 0x2f800000
	v_add_u32_e32 v2, s10, v41
	v_ashrrev_i32_e32 v3, 31, v2
	v_fmac_f32_e32 v4, 0x2f800000, v1
	v_mov_b32_e32 v1, s9
	v_add_co_u32_e32 v2, vcc, s8, v2
	v_addc_co_u32_e32 v3, vcc, v1, v3, vcc
	v_fma_mixlo_f16 v1, s11, v4, v39
	v_mov_b32_e32 v4, s16
	v_cmp_eq_f16_e32 vcc, s18, v1
	v_cndmask_b32_e32 v1, v1, v4, vcc
	global_store_short v[2:3], v1, off
	s_branch .LBB10_7
.LBB10_18:                              ;   in Loop: Header=BB10_8 Depth=1
	v_cmp_lt_i32_e32 vcc, 2, v18
	s_and_saveexec_b64 s[12:13], vcc
	s_xor_b64 s[12:13], exec, s[12:13]
; %bb.19:                               ;   in Loop: Header=BB10_8 Depth=1
	v_mov_b32_e32 v10, v5
	v_mov_b32_e32 v11, v6
	v_pk_mov_b32 v[2:3], v[10:11], v[10:11] op_sel:[0,1]
	v_pk_mov_b32 v[4:5], v[12:13], v[12:13] op_sel:[0,1]
                                        ; implicit-def: $vgpr12_vgpr13
; %bb.20:                               ;   in Loop: Header=BB10_8 Depth=1
	s_andn2_saveexec_b64 s[12:13], s[12:13]
; %bb.21:                               ;   in Loop: Header=BB10_8 Depth=1
	v_mov_b32_e32 v2, v4
	v_mov_b32_e32 v3, v5
	v_mov_b32_e32 v4, v6
	v_mov_b32_e32 v5, v12
; %bb.22:                               ;   in Loop: Header=BB10_8 Depth=1
	s_or_b64 exec, exec, s[12:13]
	s_andn2_saveexec_b64 s[6:7], s[6:7]
	s_cbranch_execz .LBB10_10
.LBB10_23:                              ;   in Loop: Header=BB10_8 Depth=1
	v_cmp_eq_u32_e32 vcc, 1, v18
	s_and_saveexec_b64 s[12:13], vcc
; %bb.24:                               ;   in Loop: Header=BB10_8 Depth=1
	v_mov_b32_e32 v2, v3
	v_mov_b32_e32 v3, v4
	;; [unrolled: 1-line block ×4, first 2 shown]
; %bb.25:                               ;   in Loop: Header=BB10_8 Depth=1
	s_or_b64 exec, exec, s[12:13]
	s_or_b64 exec, exec, s[6:7]
	v_cmp_gt_i64_e32 vcc, s[0:1], v[16:17]
	s_and_saveexec_b64 s[6:7], vcc
	s_cbranch_execnz .LBB10_11
	s_branch .LBB10_12
.LBB10_26:
	s_endpgm
.LBB10_27:
                                        ; implicit-def: $sgpr8_sgpr9
	s_andn2_b64 vcc, exec, s[2:3]
	s_cbranch_vccz .LBB10_4
	s_branch .LBB10_5
	.section	.rodata,"a",@progbits
	.p2align	6, 0x0
	.amdhsa_kernel _ZN2at6native12_GLOBAL__N_143distribution_elementwise_grid_stride_kernelIfLi4EZNS0_9templates4cuda21uniform_and_transformIN3c104HalfEfPNS_17CUDAGeneratorImplEZZZNS4_14uniform_kernelIS9_EEvRNS_18TensorIteratorBaseEddT_ENKUlvE_clEvENKUlvE1_clEvEUlfE_EEvSC_T1_T2_EUlP25hiprandStatePhilox4_32_10E0_ZNS1_27distribution_nullary_kernelIS7_f15HIP_vector_typeIfLj4EES9_SL_SG_EEvSC_SI_RKT3_T4_EUlifE_EEvlNS_15PhiloxCudaStateESH_SI_
		.amdhsa_group_segment_fixed_size 0
		.amdhsa_private_segment_fixed_size 0
		.amdhsa_kernarg_size 328
		.amdhsa_user_sgpr_count 6
		.amdhsa_user_sgpr_private_segment_buffer 1
		.amdhsa_user_sgpr_dispatch_ptr 0
		.amdhsa_user_sgpr_queue_ptr 0
		.amdhsa_user_sgpr_kernarg_segment_ptr 1
		.amdhsa_user_sgpr_dispatch_id 0
		.amdhsa_user_sgpr_flat_scratch_init 0
		.amdhsa_user_sgpr_kernarg_preload_length 0
		.amdhsa_user_sgpr_kernarg_preload_offset 0
		.amdhsa_user_sgpr_private_segment_size 0
		.amdhsa_uses_dynamic_stack 0
		.amdhsa_system_sgpr_private_segment_wavefront_offset 0
		.amdhsa_system_sgpr_workgroup_id_x 1
		.amdhsa_system_sgpr_workgroup_id_y 0
		.amdhsa_system_sgpr_workgroup_id_z 0
		.amdhsa_system_sgpr_workgroup_info 0
		.amdhsa_system_vgpr_workitem_id 0
		.amdhsa_next_free_vgpr 48
		.amdhsa_next_free_sgpr 26
		.amdhsa_accum_offset 48
		.amdhsa_reserve_vcc 1
		.amdhsa_reserve_flat_scratch 0
		.amdhsa_float_round_mode_32 0
		.amdhsa_float_round_mode_16_64 0
		.amdhsa_float_denorm_mode_32 3
		.amdhsa_float_denorm_mode_16_64 3
		.amdhsa_dx10_clamp 1
		.amdhsa_ieee_mode 1
		.amdhsa_fp16_overflow 0
		.amdhsa_tg_split 0
		.amdhsa_exception_fp_ieee_invalid_op 0
		.amdhsa_exception_fp_denorm_src 0
		.amdhsa_exception_fp_ieee_div_zero 0
		.amdhsa_exception_fp_ieee_overflow 0
		.amdhsa_exception_fp_ieee_underflow 0
		.amdhsa_exception_fp_ieee_inexact 0
		.amdhsa_exception_int_div_zero 0
	.end_amdhsa_kernel
	.section	.text._ZN2at6native12_GLOBAL__N_143distribution_elementwise_grid_stride_kernelIfLi4EZNS0_9templates4cuda21uniform_and_transformIN3c104HalfEfPNS_17CUDAGeneratorImplEZZZNS4_14uniform_kernelIS9_EEvRNS_18TensorIteratorBaseEddT_ENKUlvE_clEvENKUlvE1_clEvEUlfE_EEvSC_T1_T2_EUlP25hiprandStatePhilox4_32_10E0_ZNS1_27distribution_nullary_kernelIS7_f15HIP_vector_typeIfLj4EES9_SL_SG_EEvSC_SI_RKT3_T4_EUlifE_EEvlNS_15PhiloxCudaStateESH_SI_,"axG",@progbits,_ZN2at6native12_GLOBAL__N_143distribution_elementwise_grid_stride_kernelIfLi4EZNS0_9templates4cuda21uniform_and_transformIN3c104HalfEfPNS_17CUDAGeneratorImplEZZZNS4_14uniform_kernelIS9_EEvRNS_18TensorIteratorBaseEddT_ENKUlvE_clEvENKUlvE1_clEvEUlfE_EEvSC_T1_T2_EUlP25hiprandStatePhilox4_32_10E0_ZNS1_27distribution_nullary_kernelIS7_f15HIP_vector_typeIfLj4EES9_SL_SG_EEvSC_SI_RKT3_T4_EUlifE_EEvlNS_15PhiloxCudaStateESH_SI_,comdat
.Lfunc_end10:
	.size	_ZN2at6native12_GLOBAL__N_143distribution_elementwise_grid_stride_kernelIfLi4EZNS0_9templates4cuda21uniform_and_transformIN3c104HalfEfPNS_17CUDAGeneratorImplEZZZNS4_14uniform_kernelIS9_EEvRNS_18TensorIteratorBaseEddT_ENKUlvE_clEvENKUlvE1_clEvEUlfE_EEvSC_T1_T2_EUlP25hiprandStatePhilox4_32_10E0_ZNS1_27distribution_nullary_kernelIS7_f15HIP_vector_typeIfLj4EES9_SL_SG_EEvSC_SI_RKT3_T4_EUlifE_EEvlNS_15PhiloxCudaStateESH_SI_, .Lfunc_end10-_ZN2at6native12_GLOBAL__N_143distribution_elementwise_grid_stride_kernelIfLi4EZNS0_9templates4cuda21uniform_and_transformIN3c104HalfEfPNS_17CUDAGeneratorImplEZZZNS4_14uniform_kernelIS9_EEvRNS_18TensorIteratorBaseEddT_ENKUlvE_clEvENKUlvE1_clEvEUlfE_EEvSC_T1_T2_EUlP25hiprandStatePhilox4_32_10E0_ZNS1_27distribution_nullary_kernelIS7_f15HIP_vector_typeIfLj4EES9_SL_SG_EEvSC_SI_RKT3_T4_EUlifE_EEvlNS_15PhiloxCudaStateESH_SI_
                                        ; -- End function
	.section	.AMDGPU.csdata,"",@progbits
; Kernel info:
; codeLenInByte = 2504
; NumSgprs: 30
; NumVgprs: 48
; NumAgprs: 0
; TotalNumVgprs: 48
; ScratchSize: 0
; MemoryBound: 0
; FloatMode: 240
; IeeeMode: 1
; LDSByteSize: 0 bytes/workgroup (compile time only)
; SGPRBlocks: 3
; VGPRBlocks: 5
; NumSGPRsForWavesPerEU: 30
; NumVGPRsForWavesPerEU: 48
; AccumOffset: 48
; Occupancy: 8
; WaveLimiterHint : 0
; COMPUTE_PGM_RSRC2:SCRATCH_EN: 0
; COMPUTE_PGM_RSRC2:USER_SGPR: 6
; COMPUTE_PGM_RSRC2:TRAP_HANDLER: 0
; COMPUTE_PGM_RSRC2:TGID_X_EN: 1
; COMPUTE_PGM_RSRC2:TGID_Y_EN: 0
; COMPUTE_PGM_RSRC2:TGID_Z_EN: 0
; COMPUTE_PGM_RSRC2:TIDIG_COMP_CNT: 0
; COMPUTE_PGM_RSRC3_GFX90A:ACCUM_OFFSET: 11
; COMPUTE_PGM_RSRC3_GFX90A:TG_SPLIT: 0
	.section	.text._ZN2at6native12_GLOBAL__N_143distribution_elementwise_grid_stride_kernelIfLi4EZNS0_9templates4cuda21uniform_and_transformIN3c104HalfEfPNS_17CUDAGeneratorImplEZZZNS4_14uniform_kernelIS9_EEvRNS_18TensorIteratorBaseEddT_ENKUlvE_clEvENKUlvE1_clEvEUlfE_EEvSC_T1_T2_EUlP25hiprandStatePhilox4_32_10E0_ZNS1_27distribution_nullary_kernelIS7_f15HIP_vector_typeIfLj4EES9_SL_SG_EEvSC_SI_RKT3_T4_EUlifE0_EEvlNS_15PhiloxCudaStateESH_SI_,"axG",@progbits,_ZN2at6native12_GLOBAL__N_143distribution_elementwise_grid_stride_kernelIfLi4EZNS0_9templates4cuda21uniform_and_transformIN3c104HalfEfPNS_17CUDAGeneratorImplEZZZNS4_14uniform_kernelIS9_EEvRNS_18TensorIteratorBaseEddT_ENKUlvE_clEvENKUlvE1_clEvEUlfE_EEvSC_T1_T2_EUlP25hiprandStatePhilox4_32_10E0_ZNS1_27distribution_nullary_kernelIS7_f15HIP_vector_typeIfLj4EES9_SL_SG_EEvSC_SI_RKT3_T4_EUlifE0_EEvlNS_15PhiloxCudaStateESH_SI_,comdat
	.globl	_ZN2at6native12_GLOBAL__N_143distribution_elementwise_grid_stride_kernelIfLi4EZNS0_9templates4cuda21uniform_and_transformIN3c104HalfEfPNS_17CUDAGeneratorImplEZZZNS4_14uniform_kernelIS9_EEvRNS_18TensorIteratorBaseEddT_ENKUlvE_clEvENKUlvE1_clEvEUlfE_EEvSC_T1_T2_EUlP25hiprandStatePhilox4_32_10E0_ZNS1_27distribution_nullary_kernelIS7_f15HIP_vector_typeIfLj4EES9_SL_SG_EEvSC_SI_RKT3_T4_EUlifE0_EEvlNS_15PhiloxCudaStateESH_SI_ ; -- Begin function _ZN2at6native12_GLOBAL__N_143distribution_elementwise_grid_stride_kernelIfLi4EZNS0_9templates4cuda21uniform_and_transformIN3c104HalfEfPNS_17CUDAGeneratorImplEZZZNS4_14uniform_kernelIS9_EEvRNS_18TensorIteratorBaseEddT_ENKUlvE_clEvENKUlvE1_clEvEUlfE_EEvSC_T1_T2_EUlP25hiprandStatePhilox4_32_10E0_ZNS1_27distribution_nullary_kernelIS7_f15HIP_vector_typeIfLj4EES9_SL_SG_EEvSC_SI_RKT3_T4_EUlifE0_EEvlNS_15PhiloxCudaStateESH_SI_
	.p2align	8
	.type	_ZN2at6native12_GLOBAL__N_143distribution_elementwise_grid_stride_kernelIfLi4EZNS0_9templates4cuda21uniform_and_transformIN3c104HalfEfPNS_17CUDAGeneratorImplEZZZNS4_14uniform_kernelIS9_EEvRNS_18TensorIteratorBaseEddT_ENKUlvE_clEvENKUlvE1_clEvEUlfE_EEvSC_T1_T2_EUlP25hiprandStatePhilox4_32_10E0_ZNS1_27distribution_nullary_kernelIS7_f15HIP_vector_typeIfLj4EES9_SL_SG_EEvSC_SI_RKT3_T4_EUlifE0_EEvlNS_15PhiloxCudaStateESH_SI_,@function
_ZN2at6native12_GLOBAL__N_143distribution_elementwise_grid_stride_kernelIfLi4EZNS0_9templates4cuda21uniform_and_transformIN3c104HalfEfPNS_17CUDAGeneratorImplEZZZNS4_14uniform_kernelIS9_EEvRNS_18TensorIteratorBaseEddT_ENKUlvE_clEvENKUlvE1_clEvEUlfE_EEvSC_T1_T2_EUlP25hiprandStatePhilox4_32_10E0_ZNS1_27distribution_nullary_kernelIS7_f15HIP_vector_typeIfLj4EES9_SL_SG_EEvSC_SI_RKT3_T4_EUlifE0_EEvlNS_15PhiloxCudaStateESH_SI_: ; @_ZN2at6native12_GLOBAL__N_143distribution_elementwise_grid_stride_kernelIfLi4EZNS0_9templates4cuda21uniform_and_transformIN3c104HalfEfPNS_17CUDAGeneratorImplEZZZNS4_14uniform_kernelIS9_EEvRNS_18TensorIteratorBaseEddT_ENKUlvE_clEvENKUlvE1_clEvEUlfE_EEvSC_T1_T2_EUlP25hiprandStatePhilox4_32_10E0_ZNS1_27distribution_nullary_kernelIS7_f15HIP_vector_typeIfLj4EES9_SL_SG_EEvSC_SI_RKT3_T4_EUlifE0_EEvlNS_15PhiloxCudaStateESH_SI_
; %bb.0:
	s_load_dword s2, s[4:5], 0x20
	s_load_dwordx2 s[0:1], s[4:5], 0x10
	s_load_dwordx4 s[24:27], s[4:5], 0x0
	s_waitcnt lgkmcnt(0)
	s_bitcmp0_b32 s2, 0
	s_mov_b32 s2, 0
	v_pk_mov_b32 v[2:3], s[0:1], s[0:1] op_sel:[0,1]
	v_pk_mov_b32 v[12:13], s[26:27], s[26:27] op_sel:[0,1]
	s_cbranch_scc1 .LBB11_2
; %bb.1:
	v_pk_mov_b32 v[2:3], s[0:1], s[0:1] op_sel:[0,1]
	flat_load_dwordx2 v[2:3], v[2:3]
	v_pk_mov_b32 v[4:5], s[26:27], s[26:27] op_sel:[0,1]
	flat_load_dwordx2 v[12:13], v[4:5]
	s_load_dwordx2 s[0:1], s[4:5], 0x18
	s_waitcnt lgkmcnt(0)
	v_mov_b32_e32 v1, s1
	s_waitcnt vmcnt(0)
	v_add_co_u32_e32 v2, vcc, s0, v2
	v_addc_co_u32_e32 v3, vcc, v3, v1, vcc
.LBB11_2:
	s_load_dword s0, s[4:5], 0x154
	s_load_dword s7, s[4:5], 0x148
	s_waitcnt lgkmcnt(0)
	s_and_b32 s8, s0, 0xffff
	s_add_u32 s9, s24, -1
	s_mul_i32 s33, s7, s8
	s_addc_u32 s3, s25, -1
	s_lshl_b32 s60, s33, 2
	s_cmp_lg_u64 s[2:3], 0
	s_mov_b64 s[0:1], -1
	s_cbranch_scc0 .LBB11_83
; %bb.3:
	v_cvt_f32_u32_e32 v1, s60
	v_cvt_f32_ubyte0_e32 v4, 0
	s_sub_u32 s2, 0, s60
	s_subb_u32 s10, 0, 0
	v_madmk_f32 v1, v4, 0x4f800000, v1
	v_rcp_f32_e32 v1, v1
	v_mul_f32_e32 v1, 0x5f7ffffc, v1
	v_mul_f32_e32 v4, 0x2f800000, v1
	v_trunc_f32_e32 v4, v4
	v_madmk_f32 v1, v4, 0xcf800000, v1
	v_cvt_u32_f32_e32 v4, v4
	v_cvt_u32_f32_e32 v1, v1
	v_readfirstlane_b32 s11, v4
	v_readfirstlane_b32 s12, v1
	s_mul_i32 s13, s2, s11
	s_mul_hi_u32 s15, s2, s12
	s_mul_i32 s14, s10, s12
	s_add_i32 s13, s15, s13
	s_add_i32 s13, s13, s14
	s_mul_i32 s16, s2, s12
	s_mul_hi_u32 s14, s12, s13
	s_mul_i32 s15, s12, s13
	s_mul_hi_u32 s12, s12, s16
	s_add_u32 s12, s12, s15
	s_addc_u32 s14, 0, s14
	s_mul_hi_u32 s17, s11, s16
	s_mul_i32 s16, s11, s16
	s_add_u32 s12, s12, s16
	s_mul_hi_u32 s15, s11, s13
	s_addc_u32 s12, s14, s17
	s_addc_u32 s14, s15, 0
	s_mul_i32 s13, s11, s13
	s_add_u32 s12, s12, s13
	s_addc_u32 s13, 0, s14
	v_add_co_u32_e32 v1, vcc, s12, v1
	s_cmp_lg_u64 vcc, 0
	s_addc_u32 s11, s11, s13
	v_readfirstlane_b32 s13, v1
	s_mul_i32 s12, s2, s11
	s_mul_hi_u32 s14, s2, s13
	s_add_i32 s12, s14, s12
	s_mul_i32 s10, s10, s13
	s_add_i32 s12, s12, s10
	s_mul_i32 s2, s2, s13
	s_mul_hi_u32 s14, s11, s2
	s_mul_i32 s15, s11, s2
	s_mul_i32 s17, s13, s12
	s_mul_hi_u32 s2, s13, s2
	s_mul_hi_u32 s16, s13, s12
	s_add_u32 s2, s2, s17
	s_addc_u32 s13, 0, s16
	s_add_u32 s2, s2, s15
	s_mul_hi_u32 s10, s11, s12
	s_addc_u32 s2, s13, s14
	s_addc_u32 s10, s10, 0
	s_mul_i32 s12, s11, s12
	s_add_u32 s2, s2, s12
	s_addc_u32 s10, 0, s10
	v_add_co_u32_e32 v1, vcc, s2, v1
	s_cmp_lg_u64 vcc, 0
	s_addc_u32 s12, s11, s10
	s_ashr_i32 s10, s3, 31
	s_add_u32 s2, s9, s10
	s_mov_b32 s11, s10
	s_addc_u32 s3, s3, s10
	s_xor_b64 s[2:3], s[2:3], s[10:11]
	v_readfirstlane_b32 s15, v1
	s_mul_i32 s14, s2, s12
	s_mul_hi_u32 s16, s2, s15
	s_mul_hi_u32 s13, s2, s12
	s_add_u32 s14, s16, s14
	s_addc_u32 s13, 0, s13
	s_mul_hi_u32 s17, s3, s15
	s_mul_i32 s15, s3, s15
	s_add_u32 s14, s14, s15
	s_mul_hi_u32 s16, s3, s12
	s_addc_u32 s13, s13, s17
	s_addc_u32 s14, s16, 0
	s_mul_i32 s12, s3, s12
	s_add_u32 s12, s13, s12
	s_addc_u32 s13, 0, s14
	s_add_u32 s14, s12, 1
	s_addc_u32 s15, s13, 0
	s_add_u32 s16, s12, 2
	s_mul_i32 s18, s60, s13
	s_mul_hi_u32 s19, s60, s12
	s_addc_u32 s17, s13, 0
	s_add_i32 s19, s19, s18
	s_mul_i32 s18, s60, s12
	v_mov_b32_e32 v1, s18
	v_sub_co_u32_e32 v1, vcc, s2, v1
	s_cmp_lg_u64 vcc, 0
	s_subb_u32 s2, s3, s19
	v_subrev_co_u32_e32 v4, vcc, s60, v1
	s_cmp_lg_u64 vcc, 0
	s_subb_u32 s3, s2, 0
	v_readfirstlane_b32 s18, v4
	s_cmp_ge_u32 s18, s60
	s_cselect_b32 s18, -1, 0
	s_cmp_eq_u32 s3, 0
	s_cselect_b32 s3, s18, -1
	s_cmp_lg_u32 s3, 0
	s_cselect_b32 s3, s17, s15
	v_readfirstlane_b32 s15, v1
	s_cselect_b32 s14, s16, s14
	s_cmp_ge_u32 s15, s60
	s_cselect_b32 s15, -1, 0
	s_cmp_eq_u32 s2, 0
	s_cselect_b32 s2, s15, -1
	s_cmp_lg_u32 s2, 0
	s_cselect_b32 s3, s3, s13
	s_cselect_b32 s2, s14, s12
	s_xor_b64 s[2:3], s[2:3], s[10:11]
	s_sub_u32 s2, s2, s10
	s_subb_u32 s3, s3, s10
	s_cbranch_execnz .LBB11_5
.LBB11_4:
	v_cvt_f32_u32_e32 v1, s60
	s_sub_i32 s0, 0, s60
	s_mov_b32 s3, 0
	v_rcp_iflag_f32_e32 v1, v1
	v_mul_f32_e32 v1, 0x4f7ffffe, v1
	v_cvt_u32_f32_e32 v1, v1
	v_readfirstlane_b32 s1, v1
	s_mul_i32 s0, s0, s1
	s_mul_hi_u32 s0, s1, s0
	s_add_i32 s1, s1, s0
	s_mul_hi_u32 s0, s9, s1
	s_mul_i32 s2, s0, s60
	s_sub_i32 s2, s9, s2
	s_add_i32 s1, s0, 1
	s_sub_i32 s9, s2, s60
	s_cmp_ge_u32 s2, s60
	s_cselect_b32 s0, s1, s0
	s_cselect_b32 s2, s9, s2
	s_add_i32 s1, s0, 1
	s_cmp_ge_u32 s2, s60
	s_cselect_b32 s2, s1, s0
.LBB11_5:
	v_mov_b32_e32 v1, 0
	v_mov_b32_e32 v4, s6
	v_mad_u64_u32 v[14:15], s[0:1], s8, v4, v[0:1]
	s_add_u32 s0, s2, 1
	s_addc_u32 s1, s3, 0
	s_mul_hi_u32 s2, s7, s8
	s_mul_i32 s1, s33, s1
	s_mul_hi_u32 s3, s33, s0
	s_add_i32 s1, s3, s1
	s_mul_i32 s2, s2, s0
	s_add_i32 s1, s1, s2
	s_mul_i32 s0, s33, s0
	s_lshl_b64 s[26:27], s[0:1], 2
	v_cmp_gt_i64_e32 vcc, s[26:27], v[14:15]
	s_and_saveexec_b64 s[0:1], vcc
	s_cbranch_execz .LBB11_82
; %bb.6:
	s_mov_b32 s0, 0x5384540f
	v_mov_b32_e32 v0, v13
	v_add_co_u32_e32 v22, vcc, s0, v12
	s_mov_b32 s0, 0x646e171e
	v_add_co_u32_e32 v23, vcc, s0, v0
	s_mov_b32 s0, 0x1715609d
	;; [unrolled: 2-line block ×6, first 2 shown]
	v_alignbit_b32 v29, v3, v2, 2
	s_mov_b32 s62, 0xd2511f53
	v_add_co_u32_e32 v28, vcc, s0, v12
	v_mad_u64_u32 v[4:5], s[0:1], v29, s62, 0
	v_xor_b32_e32 v1, v5, v13
	v_xor_b32_e32 v1, v1, v15
	s_mov_b32 s63, 0xcd9e8d57
	v_mad_u64_u32 v[6:7], s[0:1], v1, s63, 0
	v_xor_b32_e32 v1, v28, v7
	v_mad_u64_u32 v[8:9], s[0:1], v14, s63, 0
	v_and_b32_e32 v18, 3, v2
	v_xor_b32_e32 v1, v1, v8
	v_xor_b32_e32 v2, v12, v9
	v_lshrrev_b32_e32 v30, 2, v3
	v_mad_u64_u32 v[10:11], s[0:1], v1, s62, 0
	v_xor_b32_e32 v2, v2, v30
	v_xor_b32_e32 v1, v27, v11
	v_mad_u64_u32 v[2:3], s[0:1], v2, s62, 0
	v_xor_b32_e32 v1, v1, v2
	v_mad_u64_u32 v[8:9], s[0:1], v1, s63, 0
	s_mov_b32 s0, 0xbb67ae85
	v_add_co_u32_e32 v31, vcc, s0, v0
	v_xor_b32_e32 v2, v31, v3
	v_xor_b32_e32 v2, v2, v4
	v_xor_b32_e32 v1, v26, v9
	v_mad_u64_u32 v[2:3], s[0:1], v2, s63, 0
	v_xor_b32_e32 v1, v1, v2
	v_mad_u64_u32 v[4:5], s[0:1], v1, s62, 0
	s_mov_b32 s0, 0x3c6ef372
	v_add_co_u32_e32 v32, vcc, s0, v12
	v_xor_b32_e32 v2, v32, v3
	;; [unrolled: 8-line block ×6, first 2 shown]
	v_add_co_u32_e32 v21, vcc, 0xdb3d7428, v0
	v_xor_b32_e32 v2, v2, v6
	v_xor_b32_e32 v1, v21, v5
	v_mad_u64_u32 v[2:3], s[0:1], v2, s62, 0
	v_xor_b32_e32 v1, v1, v2
	v_mad_u64_u32 v[6:7], s[0:1], v1, s63, 0
	s_mov_b32 s0, 0x1fd5c5a3
	v_add_co_u32_e32 v37, vcc, s0, v0
	v_xor_b32_e32 v0, v37, v3
	v_xor_b32_e32 v0, v0, v10
	v_mad_u64_u32 v[0:1], s[0:1], v0, s63, 0
	s_mov_b32 s0, 0xf1bbcdc8
	s_load_dwordx8 s[8:15], s[4:5], 0x30
	v_add_co_u32_e32 v38, vcc, s0, v12
	v_xor_b32_e32 v1, v38, v1
	v_xor_b32_e32 v1, v1, v8
	s_add_u32 s34, s4, 48
	v_mad_u64_u32 v[8:9], s[0:1], v1, s62, 0
	s_addc_u32 s35, s5, 0
	s_waitcnt lgkmcnt(0)
	s_add_i32 s0, s8, -1
	s_cmp_gt_u32 s0, 1
	s_cselect_b64 s[40:41], -1, 0
	s_cmp_lg_u32 s8, 0
	s_load_dwordx2 s[46:47], s[4:5], 0xf4
	s_load_dwordx4 s[28:31], s[4:5], 0x138
	s_cselect_b64 s[42:43], -1, 0
	s_add_u32 s44, s4, 0xf4
	s_addc_u32 s45, s5, 0
	s_min_u32 s1, s0, 15
	s_cmp_gt_u32 s8, 1
	s_cselect_b64 s[48:49], -1, 0
	s_add_i32 s1, s1, 1
	s_mov_b32 s8, s13
	s_waitcnt lgkmcnt(0)
	s_lshr_b32 s13, s31, 16
	s_lshl_b32 s15, s33, 1
	s_and_b32 s67, s1, 3
	v_cvt_f32_f16_e32 v39, s31
	s_cmp_lg_u32 s0, 2
	s_cselect_b64 s[50:51], -1, 0
	s_and_b32 s68, s1, 28
	s_mov_b32 s61, 0
	v_add_u32_e32 v19, 0x8ff34781, v12
	v_add_u32_e32 v20, 0x96a522ad, v13
	v_xor_b32_e32 v0, v7, v0
	v_xor_b32_e32 v1, v9, v4
	s_cmp_lg_u32 s67, 0
	v_xor_b32_e32 v0, v19, v0
	v_xor_b32_e32 v2, v20, v1
	v_mov_b32_e32 v1, v6
	v_mov_b32_e32 v3, v8
	s_mov_b32 s64, s61
	s_mul_i32 s65, s33, 3
	s_mov_b32 s66, s61
	s_mov_b64 s[52:53], 0
	s_cselect_b64 s[54:55], -1, 0
	v_mov_b32_e32 v40, v14
	v_mov_b32_e32 v41, v15
	s_branch .LBB11_9
.LBB11_7:                               ;   in Loop: Header=BB11_9 Depth=1
	v_cvt_f32_u32_e32 v0, v3
	v_mov_b32_e32 v1, 0x2f800000
	v_mov_b32_e32 v2, s31
	v_fmac_f32_e32 v1, 0x2f800000, v0
	v_fma_mixlo_f16 v0, v1, s30, v39
	v_cmp_eq_f16_e32 vcc, s13, v0
	v_cndmask_b32_e32 v0, v0, v2, vcc
	global_store_short v8, v0, s[28:29]
.LBB11_8:                               ;   in Loop: Header=BB11_9 Depth=1
	s_or_b64 exec, exec, s[36:37]
	v_add_co_u32_e32 v14, vcc, s60, v14
	v_addc_co_u32_e32 v15, vcc, 0, v15, vcc
	v_mov_b32_e32 v7, v16
	v_cmp_le_i64_e32 vcc, s[26:27], v[14:15]
	v_pk_mov_b32 v[0:1], v[4:5], v[4:5] op_sel:[0,1]
	s_or_b64 s[52:53], vcc, s[52:53]
	v_pk_mov_b32 v[2:3], v[6:7], v[6:7] op_sel:[0,1]
	s_barrier
	s_andn2_b64 exec, exec, s[52:53]
	s_cbranch_execz .LBB11_82
.LBB11_9:                               ; =>This Loop Header: Depth=1
                                        ;     Child Loop BB11_24 Depth 2
                                        ;     Child Loop BB11_30 Depth 2
	;; [unrolled: 1-line block ×8, first 2 shown]
	v_add_co_u32_e32 v29, vcc, 1, v29
	v_cndmask_b32_e64 v4, 0, 1, vcc
	v_addc_co_u32_e32 v30, vcc, 0, v30, vcc
	v_cmp_eq_u32_e32 vcc, 0, v30
	v_cndmask_b32_e32 v4, 0, v4, vcc
	v_add_u32_e32 v40, v4, v40
	v_cmp_eq_u32_e32 vcc, 0, v40
	v_cndmask_b32_e32 v4, 0, v4, vcc
	v_add_u32_e32 v41, v4, v41
	v_mad_u64_u32 v[4:5], s[0:1], v29, s62, 0
	v_mad_u64_u32 v[6:7], s[0:1], v40, s63, 0
	v_xor_b32_e32 v5, v5, v13
	v_xor_b32_e32 v7, v7, v12
	v_xor_b32_e32 v5, v41, v5
	v_xor_b32_e32 v7, v30, v7
	v_mad_u64_u32 v[10:11], s[0:1], v5, s63, 0
	v_mad_u64_u32 v[8:9], s[0:1], v7, s62, 0
	v_xor_b32_e32 v5, v28, v11
	v_xor_b32_e32 v5, v5, v6
	v_xor_b32_e32 v6, v31, v9
	v_xor_b32_e32 v6, v6, v4
	;; [unrolled: 6-line block ×10, first 2 shown]
	v_mov_b32_e32 v5, v10
	v_mov_b32_e32 v6, v11
	v_cmp_lt_i32_e32 vcc, 1, v18
	s_and_saveexec_b64 s[0:1], vcc
	s_xor_b64 s[0:1], exec, s[0:1]
	s_cbranch_execz .LBB11_15
; %bb.10:                               ;   in Loop: Header=BB11_9 Depth=1
	v_cmp_lt_i32_e32 vcc, 2, v18
	s_and_saveexec_b64 s[2:3], vcc
	s_xor_b64 s[2:3], exec, s[2:3]
; %bb.11:                               ;   in Loop: Header=BB11_9 Depth=1
	v_mov_b32_e32 v8, v3
	v_mov_b32_e32 v9, v4
	v_pk_mov_b32 v[0:1], v[8:9], v[8:9] op_sel:[0,1]
	v_pk_mov_b32 v[2:3], v[10:11], v[10:11] op_sel:[0,1]
                                        ; implicit-def: $vgpr10_vgpr11
; %bb.12:                               ;   in Loop: Header=BB11_9 Depth=1
	s_andn2_saveexec_b64 s[2:3], s[2:3]
; %bb.13:                               ;   in Loop: Header=BB11_9 Depth=1
	v_mov_b32_e32 v0, v2
	v_mov_b32_e32 v1, v3
	;; [unrolled: 1-line block ×4, first 2 shown]
; %bb.14:                               ;   in Loop: Header=BB11_9 Depth=1
	s_or_b64 exec, exec, s[2:3]
.LBB11_15:                              ;   in Loop: Header=BB11_9 Depth=1
	s_andn2_saveexec_b64 s[0:1], s[0:1]
	s_cbranch_execz .LBB11_19
; %bb.16:                               ;   in Loop: Header=BB11_9 Depth=1
	v_cmp_eq_u32_e32 vcc, 1, v18
	s_and_saveexec_b64 s[2:3], vcc
; %bb.17:                               ;   in Loop: Header=BB11_9 Depth=1
	v_mov_b32_e32 v0, v1
	v_mov_b32_e32 v1, v2
	;; [unrolled: 1-line block ×4, first 2 shown]
; %bb.18:                               ;   in Loop: Header=BB11_9 Depth=1
	s_or_b64 exec, exec, s[2:3]
.LBB11_19:                              ;   in Loop: Header=BB11_9 Depth=1
	s_or_b64 exec, exec, s[0:1]
	v_cndmask_b32_e64 v7, 0, 1, s[40:41]
	v_cmp_gt_i64_e32 vcc, s[24:25], v[14:15]
	v_cmp_ne_u32_e64 s[0:1], 1, v7
	s_and_saveexec_b64 s[2:3], vcc
	s_cbranch_execz .LBB11_35
; %bb.20:                               ;   in Loop: Header=BB11_9 Depth=1
	s_and_b64 vcc, exec, s[0:1]
	s_cbranch_vccnz .LBB11_26
; %bb.21:                               ;   in Loop: Header=BB11_9 Depth=1
	s_andn2_b64 vcc, exec, s[42:43]
	s_cbranch_vccnz .LBB11_27
; %bb.22:                               ;   in Loop: Header=BB11_9 Depth=1
	s_mov_b32 s6, 0
	s_andn2_b64 vcc, exec, s[50:51]
	v_mov_b32_e32 v8, 0
	s_cbranch_vccnz .LBB11_28
; %bb.23:                               ;   in Loop: Header=BB11_9 Depth=1
	s_mov_b32 s69, 0
	v_mov_b32_e32 v8, 0
	s_mov_b64 s[56:57], s[34:35]
	s_mov_b64 s[58:59], s[44:45]
	v_mov_b32_e32 v7, v14
.LBB11_24:                              ;   Parent Loop BB11_9 Depth=1
                                        ; =>  This Inner Loop Header: Depth=2
	s_load_dwordx8 s[16:23], s[56:57], 0x4
	s_load_dwordx4 s[4:7], s[56:57], 0x24
	s_load_dwordx4 s[36:39], s[58:59], 0x0
	s_add_u32 s56, s56, 48
	s_addc_u32 s57, s57, 0
	s_waitcnt lgkmcnt(0)
	v_mul_hi_u32 v9, s17, v7
	v_add_u32_e32 v9, v7, v9
	v_lshrrev_b32_e32 v9, s18, v9
	v_mul_lo_u32 v10, v9, s16
	v_mul_hi_u32 v11, s20, v9
	v_sub_u32_e32 v7, v7, v10
	v_add_u32_e32 v10, v9, v11
	v_lshrrev_b32_e32 v10, s21, v10
	v_mul_lo_u32 v11, v10, s19
	v_mul_hi_u32 v17, s23, v10
	v_sub_u32_e32 v9, v9, v11
	v_add_u32_e32 v11, v10, v17
	v_mul_lo_u32 v7, v7, s36
	v_mul_lo_u32 v9, v9, s37
	v_lshrrev_b32_e32 v11, s4, v11
	v_add3_u32 v8, v7, v8, v9
	v_mul_lo_u32 v7, v11, s22
	v_mul_hi_u32 v9, s6, v11
	v_sub_u32_e32 v7, v10, v7
	v_add_u32_e32 v9, v11, v9
	v_mul_lo_u32 v10, v7, s38
	v_lshrrev_b32_e32 v7, s7, v9
	s_add_i32 s69, s69, 4
	v_mul_lo_u32 v9, v7, s5
	s_add_u32 s58, s58, 16
	v_sub_u32_e32 v9, v11, v9
	s_addc_u32 s59, s59, 0
	v_mul_lo_u32 v9, v9, s39
	s_cmp_lg_u32 s68, s69
	v_add3_u32 v8, v10, v8, v9
	s_cbranch_scc1 .LBB11_24
; %bb.25:                               ;   in Loop: Header=BB11_9 Depth=1
	s_mov_b32 s6, s68
	s_andn2_b64 vcc, exec, s[54:55]
	s_cbranch_vccz .LBB11_29
	s_branch .LBB11_31
.LBB11_26:                              ;   in Loop: Header=BB11_9 Depth=1
                                        ; implicit-def: $vgpr8
	s_branch .LBB11_32
.LBB11_27:                              ;   in Loop: Header=BB11_9 Depth=1
	v_mov_b32_e32 v8, 0
	s_branch .LBB11_31
.LBB11_28:                              ;   in Loop: Header=BB11_9 Depth=1
	v_mov_b32_e32 v7, v14
	s_andn2_b64 vcc, exec, s[54:55]
	s_cbranch_vccnz .LBB11_31
.LBB11_29:                              ;   in Loop: Header=BB11_9 Depth=1
	s_lshl_b32 s4, s6, 2
	s_add_u32 s4, s44, s4
	s_addc_u32 s5, s45, 0
	s_mul_i32 s6, s6, 12
	s_add_u32 s6, s34, s6
	s_addc_u32 s7, s35, 0
	s_mov_b32 s16, s67
.LBB11_30:                              ;   Parent Loop BB11_9 Depth=1
                                        ; =>  This Inner Loop Header: Depth=2
	s_load_dwordx2 s[18:19], s[6:7], 0x4
	s_load_dword s17, s[6:7], 0xc
	s_load_dword s20, s[4:5], 0x0
	s_add_u32 s6, s6, 12
	s_addc_u32 s7, s7, 0
	s_waitcnt lgkmcnt(0)
	v_mul_hi_u32 v9, s19, v7
	v_add_u32_e32 v9, v7, v9
	v_lshrrev_b32_e32 v9, s17, v9
	s_add_u32 s4, s4, 4
	v_mul_lo_u32 v10, v9, s18
	s_addc_u32 s5, s5, 0
	s_add_i32 s16, s16, -1
	v_sub_u32_e32 v10, v7, v10
	s_cmp_lg_u32 s16, 0
	v_mov_b32_e32 v7, v9
	v_mad_u64_u32 v[8:9], s[18:19], v10, s20, v[8:9]
	s_cbranch_scc1 .LBB11_30
.LBB11_31:                              ;   in Loop: Header=BB11_9 Depth=1
	s_cbranch_execnz .LBB11_34
.LBB11_32:                              ;   in Loop: Header=BB11_9 Depth=1
	v_mul_hi_u32 v7, v14, s10
	v_add_u32_e32 v7, v7, v14
	v_lshrrev_b32_e32 v7, s11, v7
	v_mul_lo_u32 v8, v7, s9
	v_sub_u32_e32 v8, v14, v8
	s_andn2_b64 vcc, exec, s[48:49]
	v_mul_lo_u32 v8, v8, s46
	s_cbranch_vccnz .LBB11_34
; %bb.33:                               ;   in Loop: Header=BB11_9 Depth=1
	v_mul_hi_u32 v9, s8, v7
	v_add_u32_e32 v9, v7, v9
	v_lshrrev_b32_e32 v9, s14, v9
	v_mul_lo_u32 v9, v9, s12
	v_sub_u32_e32 v7, v7, v9
	v_mad_u64_u32 v[8:9], s[4:5], v7, s47, v[8:9]
.LBB11_34:                              ;   in Loop: Header=BB11_9 Depth=1
	v_cvt_f32_u32_e32 v0, v0
	v_mov_b32_e32 v7, 0x2f800000
	v_mov_b32_e32 v9, s31
	v_fmac_f32_e32 v7, 0x2f800000, v0
	v_fma_mixlo_f16 v0, v7, s30, v39
	v_cmp_eq_f16_e32 vcc, s13, v0
	v_cndmask_b32_e32 v0, v0, v9, vcc
	global_store_short v8, v0, s[28:29]
.LBB11_35:                              ;   in Loop: Header=BB11_9 Depth=1
	s_or_b64 exec, exec, s[2:3]
	v_mov_b32_e32 v0, s61
	v_add_co_u32_e32 v8, vcc, s33, v14
	v_addc_co_u32_e32 v9, vcc, v15, v0, vcc
	v_cmp_gt_i64_e32 vcc, s[24:25], v[8:9]
	s_and_saveexec_b64 s[2:3], vcc
	s_cbranch_execz .LBB11_51
; %bb.36:                               ;   in Loop: Header=BB11_9 Depth=1
	s_and_b64 vcc, exec, s[0:1]
	s_cbranch_vccnz .LBB11_42
; %bb.37:                               ;   in Loop: Header=BB11_9 Depth=1
	s_andn2_b64 vcc, exec, s[42:43]
	s_cbranch_vccnz .LBB11_43
; %bb.38:                               ;   in Loop: Header=BB11_9 Depth=1
	s_mov_b32 s6, 0
	s_andn2_b64 vcc, exec, s[50:51]
	v_mov_b32_e32 v10, 0
	s_cbranch_vccnz .LBB11_44
; %bb.39:                               ;   in Loop: Header=BB11_9 Depth=1
	s_mov_b32 s69, 0
	v_mov_b32_e32 v10, 0
	s_mov_b64 s[56:57], s[34:35]
	s_mov_b64 s[58:59], s[44:45]
	v_mov_b32_e32 v0, v8
.LBB11_40:                              ;   Parent Loop BB11_9 Depth=1
                                        ; =>  This Inner Loop Header: Depth=2
	s_load_dwordx8 s[16:23], s[56:57], 0x4
	s_load_dwordx4 s[4:7], s[56:57], 0x24
	s_load_dwordx4 s[36:39], s[58:59], 0x0
	s_add_u32 s56, s56, 48
	s_addc_u32 s57, s57, 0
	s_waitcnt lgkmcnt(0)
	v_mul_hi_u32 v7, s17, v0
	v_add_u32_e32 v7, v0, v7
	v_lshrrev_b32_e32 v7, s18, v7
	v_mul_lo_u32 v9, v7, s16
	v_mul_hi_u32 v11, s20, v7
	v_sub_u32_e32 v0, v0, v9
	v_add_u32_e32 v9, v7, v11
	v_lshrrev_b32_e32 v9, s21, v9
	v_mul_lo_u32 v11, v9, s19
	v_mul_hi_u32 v17, s23, v9
	v_sub_u32_e32 v7, v7, v11
	v_add_u32_e32 v11, v9, v17
	v_mul_lo_u32 v0, v0, s36
	v_mul_lo_u32 v7, v7, s37
	v_lshrrev_b32_e32 v11, s4, v11
	v_add3_u32 v7, v0, v10, v7
	v_mul_lo_u32 v0, v11, s22
	v_mul_hi_u32 v10, s6, v11
	v_sub_u32_e32 v0, v9, v0
	v_add_u32_e32 v9, v11, v10
	v_mul_lo_u32 v10, v0, s38
	v_lshrrev_b32_e32 v0, s7, v9
	s_add_i32 s69, s69, 4
	v_mul_lo_u32 v9, v0, s5
	s_add_u32 s58, s58, 16
	v_sub_u32_e32 v9, v11, v9
	s_addc_u32 s59, s59, 0
	v_mul_lo_u32 v9, v9, s39
	s_cmp_eq_u32 s68, s69
	v_add3_u32 v10, v10, v7, v9
	s_cbranch_scc0 .LBB11_40
; %bb.41:                               ;   in Loop: Header=BB11_9 Depth=1
	s_mov_b32 s6, s68
	s_andn2_b64 vcc, exec, s[54:55]
	s_cbranch_vccz .LBB11_45
	s_branch .LBB11_47
.LBB11_42:                              ;   in Loop: Header=BB11_9 Depth=1
                                        ; implicit-def: $vgpr10
	s_branch .LBB11_48
.LBB11_43:                              ;   in Loop: Header=BB11_9 Depth=1
	v_mov_b32_e32 v10, 0
	s_branch .LBB11_47
.LBB11_44:                              ;   in Loop: Header=BB11_9 Depth=1
	v_mov_b32_e32 v0, v8
	s_andn2_b64 vcc, exec, s[54:55]
	s_cbranch_vccnz .LBB11_47
.LBB11_45:                              ;   in Loop: Header=BB11_9 Depth=1
	s_lshl_b32 s4, s6, 2
	s_add_u32 s4, s44, s4
	s_addc_u32 s5, s45, 0
	s_mul_i32 s6, s6, 12
	s_add_u32 s6, s34, s6
	s_addc_u32 s7, s35, 0
	s_mov_b32 s16, s67
.LBB11_46:                              ;   Parent Loop BB11_9 Depth=1
                                        ; =>  This Inner Loop Header: Depth=2
	s_load_dwordx2 s[18:19], s[6:7], 0x4
	s_load_dword s17, s[6:7], 0xc
	s_load_dword s20, s[4:5], 0x0
	s_add_u32 s6, s6, 12
	s_addc_u32 s7, s7, 0
	s_waitcnt lgkmcnt(0)
	v_mul_hi_u32 v7, s19, v0
	v_add_u32_e32 v7, v0, v7
	v_lshrrev_b32_e32 v7, s17, v7
	s_add_u32 s4, s4, 4
	v_mul_lo_u32 v9, v7, s18
	s_addc_u32 s5, s5, 0
	s_add_i32 s16, s16, -1
	v_sub_u32_e32 v9, v0, v9
	s_cmp_lg_u32 s16, 0
	v_mov_b32_e32 v0, v7
	v_mad_u64_u32 v[10:11], s[18:19], v9, s20, v[10:11]
	s_cbranch_scc1 .LBB11_46
.LBB11_47:                              ;   in Loop: Header=BB11_9 Depth=1
	s_cbranch_execnz .LBB11_50
.LBB11_48:                              ;   in Loop: Header=BB11_9 Depth=1
	v_mul_hi_u32 v0, v8, s10
	v_add_u32_e32 v0, v0, v8
	v_lshrrev_b32_e32 v0, s11, v0
	v_mul_lo_u32 v7, v0, s9
	v_sub_u32_e32 v7, v8, v7
	s_andn2_b64 vcc, exec, s[48:49]
	v_mul_lo_u32 v10, v7, s46
	s_cbranch_vccnz .LBB11_50
; %bb.49:                               ;   in Loop: Header=BB11_9 Depth=1
	v_mul_hi_u32 v7, s8, v0
	v_add_u32_e32 v7, v0, v7
	v_lshrrev_b32_e32 v7, s14, v7
	v_mul_lo_u32 v7, v7, s12
	v_sub_u32_e32 v0, v0, v7
	v_mad_u64_u32 v[10:11], s[4:5], v0, s47, v[10:11]
.LBB11_50:                              ;   in Loop: Header=BB11_9 Depth=1
	v_cvt_f32_u32_e32 v0, v1
	v_mov_b32_e32 v1, 0x2f800000
	v_mov_b32_e32 v7, s31
	v_fmac_f32_e32 v1, 0x2f800000, v0
	v_fma_mixlo_f16 v0, v1, s30, v39
	v_cmp_eq_f16_e32 vcc, s13, v0
	v_cndmask_b32_e32 v0, v0, v7, vcc
	global_store_short v10, v0, s[28:29]
.LBB11_51:                              ;   in Loop: Header=BB11_9 Depth=1
	s_or_b64 exec, exec, s[2:3]
	v_mov_b32_e32 v1, s64
	v_add_co_u32_e32 v0, vcc, s15, v14
	v_addc_co_u32_e32 v1, vcc, v15, v1, vcc
	v_cmp_gt_i64_e32 vcc, s[24:25], v[0:1]
	s_and_saveexec_b64 s[2:3], vcc
	s_cbranch_execz .LBB11_67
; %bb.52:                               ;   in Loop: Header=BB11_9 Depth=1
	s_and_b64 vcc, exec, s[0:1]
	s_cbranch_vccnz .LBB11_58
; %bb.53:                               ;   in Loop: Header=BB11_9 Depth=1
	s_andn2_b64 vcc, exec, s[42:43]
	s_cbranch_vccnz .LBB11_59
; %bb.54:                               ;   in Loop: Header=BB11_9 Depth=1
	s_mov_b32 s6, 0
	s_andn2_b64 vcc, exec, s[50:51]
	v_mov_b32_e32 v8, 0
	s_cbranch_vccnz .LBB11_60
; %bb.55:                               ;   in Loop: Header=BB11_9 Depth=1
	s_mov_b32 s69, 0
	v_mov_b32_e32 v8, 0
	s_mov_b64 s[56:57], s[34:35]
	s_mov_b64 s[58:59], s[44:45]
	v_mov_b32_e32 v1, v0
.LBB11_56:                              ;   Parent Loop BB11_9 Depth=1
                                        ; =>  This Inner Loop Header: Depth=2
	s_load_dwordx8 s[16:23], s[56:57], 0x4
	s_load_dwordx4 s[4:7], s[56:57], 0x24
	s_load_dwordx4 s[36:39], s[58:59], 0x0
	s_add_u32 s56, s56, 48
	s_addc_u32 s57, s57, 0
	s_waitcnt lgkmcnt(0)
	v_mul_hi_u32 v7, s17, v1
	v_add_u32_e32 v7, v1, v7
	v_lshrrev_b32_e32 v7, s18, v7
	v_mul_lo_u32 v9, v7, s16
	v_mul_hi_u32 v10, s20, v7
	v_sub_u32_e32 v1, v1, v9
	v_add_u32_e32 v9, v7, v10
	v_lshrrev_b32_e32 v9, s21, v9
	v_mul_lo_u32 v10, v9, s19
	v_mul_hi_u32 v11, s23, v9
	v_sub_u32_e32 v7, v7, v10
	v_add_u32_e32 v10, v9, v11
	v_mul_lo_u32 v1, v1, s36
	v_mul_lo_u32 v7, v7, s37
	v_lshrrev_b32_e32 v10, s4, v10
	v_add3_u32 v7, v1, v8, v7
	v_mul_lo_u32 v1, v10, s22
	v_mul_hi_u32 v8, s6, v10
	v_sub_u32_e32 v1, v9, v1
	v_add_u32_e32 v8, v10, v8
	v_mul_lo_u32 v9, v1, s38
	v_lshrrev_b32_e32 v1, s7, v8
	s_add_i32 s69, s69, 4
	v_mul_lo_u32 v8, v1, s5
	s_add_u32 s58, s58, 16
	v_sub_u32_e32 v8, v10, v8
	s_addc_u32 s59, s59, 0
	v_mul_lo_u32 v8, v8, s39
	s_cmp_eq_u32 s68, s69
	v_add3_u32 v8, v9, v7, v8
	s_cbranch_scc0 .LBB11_56
; %bb.57:                               ;   in Loop: Header=BB11_9 Depth=1
	s_mov_b32 s6, s68
	s_andn2_b64 vcc, exec, s[54:55]
	s_cbranch_vccz .LBB11_61
	s_branch .LBB11_63
.LBB11_58:                              ;   in Loop: Header=BB11_9 Depth=1
                                        ; implicit-def: $vgpr8
	s_branch .LBB11_64
.LBB11_59:                              ;   in Loop: Header=BB11_9 Depth=1
	v_mov_b32_e32 v8, 0
	s_branch .LBB11_63
.LBB11_60:                              ;   in Loop: Header=BB11_9 Depth=1
	v_mov_b32_e32 v1, v0
	s_andn2_b64 vcc, exec, s[54:55]
	s_cbranch_vccnz .LBB11_63
.LBB11_61:                              ;   in Loop: Header=BB11_9 Depth=1
	s_lshl_b32 s4, s6, 2
	s_add_u32 s4, s44, s4
	s_addc_u32 s5, s45, 0
	s_mul_i32 s6, s6, 12
	s_add_u32 s6, s34, s6
	s_addc_u32 s7, s35, 0
	s_mov_b32 s16, s67
.LBB11_62:                              ;   Parent Loop BB11_9 Depth=1
                                        ; =>  This Inner Loop Header: Depth=2
	s_load_dwordx2 s[18:19], s[6:7], 0x4
	s_load_dword s17, s[6:7], 0xc
	s_load_dword s20, s[4:5], 0x0
	s_add_u32 s6, s6, 12
	s_addc_u32 s7, s7, 0
	s_waitcnt lgkmcnt(0)
	v_mul_hi_u32 v7, s19, v1
	v_add_u32_e32 v7, v1, v7
	v_lshrrev_b32_e32 v7, s17, v7
	s_add_u32 s4, s4, 4
	v_mul_lo_u32 v9, v7, s18
	s_addc_u32 s5, s5, 0
	s_add_i32 s16, s16, -1
	v_sub_u32_e32 v9, v1, v9
	s_cmp_lg_u32 s16, 0
	v_mov_b32_e32 v1, v7
	v_mad_u64_u32 v[8:9], s[18:19], v9, s20, v[8:9]
	s_cbranch_scc1 .LBB11_62
.LBB11_63:                              ;   in Loop: Header=BB11_9 Depth=1
	s_cbranch_execnz .LBB11_66
.LBB11_64:                              ;   in Loop: Header=BB11_9 Depth=1
	v_mul_hi_u32 v1, v0, s10
	v_add_u32_e32 v1, v1, v0
	v_lshrrev_b32_e32 v1, s11, v1
	v_mul_lo_u32 v7, v1, s9
	v_sub_u32_e32 v0, v0, v7
	s_andn2_b64 vcc, exec, s[48:49]
	v_mul_lo_u32 v8, v0, s46
	s_cbranch_vccnz .LBB11_66
; %bb.65:                               ;   in Loop: Header=BB11_9 Depth=1
	v_mul_hi_u32 v0, s8, v1
	v_add_u32_e32 v0, v1, v0
	v_lshrrev_b32_e32 v0, s14, v0
	v_mul_lo_u32 v0, v0, s12
	v_sub_u32_e32 v0, v1, v0
	v_mad_u64_u32 v[8:9], s[4:5], v0, s47, v[8:9]
.LBB11_66:                              ;   in Loop: Header=BB11_9 Depth=1
	v_cvt_f32_u32_e32 v0, v2
	v_mov_b32_e32 v1, 0x2f800000
	v_mov_b32_e32 v2, s31
	v_fmac_f32_e32 v1, 0x2f800000, v0
	v_fma_mixlo_f16 v0, v1, s30, v39
	v_cmp_eq_f16_e32 vcc, s13, v0
	v_cndmask_b32_e32 v0, v0, v2, vcc
	global_store_short v8, v0, s[28:29]
.LBB11_67:                              ;   in Loop: Header=BB11_9 Depth=1
	s_or_b64 exec, exec, s[2:3]
	v_mov_b32_e32 v1, s66
	v_add_co_u32_e32 v0, vcc, s65, v14
	v_addc_co_u32_e32 v1, vcc, v15, v1, vcc
	v_cmp_gt_i64_e32 vcc, s[24:25], v[0:1]
	s_and_saveexec_b64 s[36:37], vcc
	s_cbranch_execz .LBB11_8
; %bb.68:                               ;   in Loop: Header=BB11_9 Depth=1
	s_and_b64 vcc, exec, s[0:1]
	s_cbranch_vccnz .LBB11_74
; %bb.69:                               ;   in Loop: Header=BB11_9 Depth=1
	s_andn2_b64 vcc, exec, s[42:43]
	s_cbranch_vccnz .LBB11_75
; %bb.70:                               ;   in Loop: Header=BB11_9 Depth=1
	s_mov_b32 s2, 0
	s_andn2_b64 vcc, exec, s[50:51]
	v_mov_b32_e32 v8, 0
	s_cbranch_vccnz .LBB11_76
; %bb.71:                               ;   in Loop: Header=BB11_9 Depth=1
	s_mov_b32 s58, 0
	v_mov_b32_e32 v8, 0
	s_mov_b64 s[38:39], s[34:35]
	s_mov_b64 s[56:57], s[44:45]
	v_mov_b32_e32 v1, v0
.LBB11_72:                              ;   Parent Loop BB11_9 Depth=1
                                        ; =>  This Inner Loop Header: Depth=2
	s_load_dwordx8 s[0:7], s[38:39], 0x4
	s_load_dwordx4 s[16:19], s[38:39], 0x24
	s_load_dwordx4 s[20:23], s[56:57], 0x0
	s_add_u32 s38, s38, 48
	s_addc_u32 s39, s39, 0
	s_waitcnt lgkmcnt(0)
	v_mul_hi_u32 v2, s1, v1
	v_add_u32_e32 v2, v1, v2
	v_lshrrev_b32_e32 v2, s2, v2
	v_mul_lo_u32 v7, v2, s0
	v_mul_hi_u32 v9, s4, v2
	v_sub_u32_e32 v1, v1, v7
	v_add_u32_e32 v7, v2, v9
	v_lshrrev_b32_e32 v7, s5, v7
	v_mul_lo_u32 v9, v7, s3
	v_mul_hi_u32 v10, s7, v7
	v_sub_u32_e32 v2, v2, v9
	v_add_u32_e32 v9, v7, v10
	v_mul_lo_u32 v1, v1, s20
	v_mul_lo_u32 v2, v2, s21
	v_lshrrev_b32_e32 v9, s16, v9
	v_add3_u32 v2, v1, v8, v2
	v_mul_lo_u32 v1, v9, s6
	v_mul_hi_u32 v8, s18, v9
	v_sub_u32_e32 v1, v7, v1
	v_add_u32_e32 v7, v9, v8
	v_mul_lo_u32 v8, v1, s22
	v_lshrrev_b32_e32 v1, s19, v7
	s_add_i32 s58, s58, 4
	v_mul_lo_u32 v7, v1, s17
	s_add_u32 s56, s56, 16
	v_sub_u32_e32 v7, v9, v7
	s_addc_u32 s57, s57, 0
	v_mul_lo_u32 v7, v7, s23
	s_cmp_eq_u32 s68, s58
	v_add3_u32 v8, v8, v2, v7
	s_cbranch_scc0 .LBB11_72
; %bb.73:                               ;   in Loop: Header=BB11_9 Depth=1
	s_mov_b32 s2, s68
	s_andn2_b64 vcc, exec, s[54:55]
	s_cbranch_vccz .LBB11_77
	s_branch .LBB11_79
.LBB11_74:                              ;   in Loop: Header=BB11_9 Depth=1
                                        ; implicit-def: $vgpr8
	s_branch .LBB11_80
.LBB11_75:                              ;   in Loop: Header=BB11_9 Depth=1
	v_mov_b32_e32 v8, 0
	s_branch .LBB11_79
.LBB11_76:                              ;   in Loop: Header=BB11_9 Depth=1
	v_mov_b32_e32 v1, v0
	s_andn2_b64 vcc, exec, s[54:55]
	s_cbranch_vccnz .LBB11_79
.LBB11_77:                              ;   in Loop: Header=BB11_9 Depth=1
	s_lshl_b32 s0, s2, 2
	s_add_u32 s0, s44, s0
	s_addc_u32 s1, s45, 0
	s_mul_i32 s2, s2, 12
	s_add_u32 s2, s34, s2
	s_addc_u32 s3, s35, 0
	s_mov_b32 s4, s67
.LBB11_78:                              ;   Parent Loop BB11_9 Depth=1
                                        ; =>  This Inner Loop Header: Depth=2
	s_load_dwordx2 s[6:7], s[2:3], 0x4
	s_load_dword s5, s[2:3], 0xc
	s_load_dword s16, s[0:1], 0x0
	s_add_u32 s2, s2, 12
	s_addc_u32 s3, s3, 0
	s_waitcnt lgkmcnt(0)
	v_mul_hi_u32 v2, s7, v1
	v_add_u32_e32 v2, v1, v2
	v_lshrrev_b32_e32 v2, s5, v2
	s_add_u32 s0, s0, 4
	v_mul_lo_u32 v7, v2, s6
	s_addc_u32 s1, s1, 0
	s_add_i32 s4, s4, -1
	v_sub_u32_e32 v7, v1, v7
	s_cmp_lg_u32 s4, 0
	v_mov_b32_e32 v1, v2
	v_mad_u64_u32 v[8:9], s[6:7], v7, s16, v[8:9]
	s_cbranch_scc1 .LBB11_78
.LBB11_79:                              ;   in Loop: Header=BB11_9 Depth=1
	s_cbranch_execnz .LBB11_7
.LBB11_80:                              ;   in Loop: Header=BB11_9 Depth=1
	v_mul_hi_u32 v1, v0, s10
	v_add_u32_e32 v1, v1, v0
	v_lshrrev_b32_e32 v1, s11, v1
	v_mul_lo_u32 v2, v1, s9
	v_sub_u32_e32 v0, v0, v2
	s_andn2_b64 vcc, exec, s[48:49]
	v_mul_lo_u32 v8, v0, s46
	s_cbranch_vccnz .LBB11_7
; %bb.81:                               ;   in Loop: Header=BB11_9 Depth=1
	v_mul_hi_u32 v0, s8, v1
	v_add_u32_e32 v0, v1, v0
	v_lshrrev_b32_e32 v0, s14, v0
	v_mul_lo_u32 v0, v0, s12
	v_sub_u32_e32 v0, v1, v0
	v_mad_u64_u32 v[8:9], s[0:1], v0, s47, v[8:9]
	s_branch .LBB11_7
.LBB11_82:
	s_endpgm
.LBB11_83:
                                        ; implicit-def: $sgpr2_sgpr3
	s_andn2_b64 vcc, exec, s[0:1]
	s_cbranch_vccz .LBB11_4
	s_branch .LBB11_5
	.section	.rodata,"a",@progbits
	.p2align	6, 0x0
	.amdhsa_kernel _ZN2at6native12_GLOBAL__N_143distribution_elementwise_grid_stride_kernelIfLi4EZNS0_9templates4cuda21uniform_and_transformIN3c104HalfEfPNS_17CUDAGeneratorImplEZZZNS4_14uniform_kernelIS9_EEvRNS_18TensorIteratorBaseEddT_ENKUlvE_clEvENKUlvE1_clEvEUlfE_EEvSC_T1_T2_EUlP25hiprandStatePhilox4_32_10E0_ZNS1_27distribution_nullary_kernelIS7_f15HIP_vector_typeIfLj4EES9_SL_SG_EEvSC_SI_RKT3_T4_EUlifE0_EEvlNS_15PhiloxCudaStateESH_SI_
		.amdhsa_group_segment_fixed_size 0
		.amdhsa_private_segment_fixed_size 0
		.amdhsa_kernarg_size 584
		.amdhsa_user_sgpr_count 6
		.amdhsa_user_sgpr_private_segment_buffer 1
		.amdhsa_user_sgpr_dispatch_ptr 0
		.amdhsa_user_sgpr_queue_ptr 0
		.amdhsa_user_sgpr_kernarg_segment_ptr 1
		.amdhsa_user_sgpr_dispatch_id 0
		.amdhsa_user_sgpr_flat_scratch_init 0
		.amdhsa_user_sgpr_kernarg_preload_length 0
		.amdhsa_user_sgpr_kernarg_preload_offset 0
		.amdhsa_user_sgpr_private_segment_size 0
		.amdhsa_uses_dynamic_stack 0
		.amdhsa_system_sgpr_private_segment_wavefront_offset 0
		.amdhsa_system_sgpr_workgroup_id_x 1
		.amdhsa_system_sgpr_workgroup_id_y 0
		.amdhsa_system_sgpr_workgroup_id_z 0
		.amdhsa_system_sgpr_workgroup_info 0
		.amdhsa_system_vgpr_workitem_id 0
		.amdhsa_next_free_vgpr 42
		.amdhsa_next_free_sgpr 70
		.amdhsa_accum_offset 44
		.amdhsa_reserve_vcc 1
		.amdhsa_reserve_flat_scratch 0
		.amdhsa_float_round_mode_32 0
		.amdhsa_float_round_mode_16_64 0
		.amdhsa_float_denorm_mode_32 3
		.amdhsa_float_denorm_mode_16_64 3
		.amdhsa_dx10_clamp 1
		.amdhsa_ieee_mode 1
		.amdhsa_fp16_overflow 0
		.amdhsa_tg_split 0
		.amdhsa_exception_fp_ieee_invalid_op 0
		.amdhsa_exception_fp_denorm_src 0
		.amdhsa_exception_fp_ieee_div_zero 0
		.amdhsa_exception_fp_ieee_overflow 0
		.amdhsa_exception_fp_ieee_underflow 0
		.amdhsa_exception_fp_ieee_inexact 0
		.amdhsa_exception_int_div_zero 0
	.end_amdhsa_kernel
	.section	.text._ZN2at6native12_GLOBAL__N_143distribution_elementwise_grid_stride_kernelIfLi4EZNS0_9templates4cuda21uniform_and_transformIN3c104HalfEfPNS_17CUDAGeneratorImplEZZZNS4_14uniform_kernelIS9_EEvRNS_18TensorIteratorBaseEddT_ENKUlvE_clEvENKUlvE1_clEvEUlfE_EEvSC_T1_T2_EUlP25hiprandStatePhilox4_32_10E0_ZNS1_27distribution_nullary_kernelIS7_f15HIP_vector_typeIfLj4EES9_SL_SG_EEvSC_SI_RKT3_T4_EUlifE0_EEvlNS_15PhiloxCudaStateESH_SI_,"axG",@progbits,_ZN2at6native12_GLOBAL__N_143distribution_elementwise_grid_stride_kernelIfLi4EZNS0_9templates4cuda21uniform_and_transformIN3c104HalfEfPNS_17CUDAGeneratorImplEZZZNS4_14uniform_kernelIS9_EEvRNS_18TensorIteratorBaseEddT_ENKUlvE_clEvENKUlvE1_clEvEUlfE_EEvSC_T1_T2_EUlP25hiprandStatePhilox4_32_10E0_ZNS1_27distribution_nullary_kernelIS7_f15HIP_vector_typeIfLj4EES9_SL_SG_EEvSC_SI_RKT3_T4_EUlifE0_EEvlNS_15PhiloxCudaStateESH_SI_,comdat
.Lfunc_end11:
	.size	_ZN2at6native12_GLOBAL__N_143distribution_elementwise_grid_stride_kernelIfLi4EZNS0_9templates4cuda21uniform_and_transformIN3c104HalfEfPNS_17CUDAGeneratorImplEZZZNS4_14uniform_kernelIS9_EEvRNS_18TensorIteratorBaseEddT_ENKUlvE_clEvENKUlvE1_clEvEUlfE_EEvSC_T1_T2_EUlP25hiprandStatePhilox4_32_10E0_ZNS1_27distribution_nullary_kernelIS7_f15HIP_vector_typeIfLj4EES9_SL_SG_EEvSC_SI_RKT3_T4_EUlifE0_EEvlNS_15PhiloxCudaStateESH_SI_, .Lfunc_end11-_ZN2at6native12_GLOBAL__N_143distribution_elementwise_grid_stride_kernelIfLi4EZNS0_9templates4cuda21uniform_and_transformIN3c104HalfEfPNS_17CUDAGeneratorImplEZZZNS4_14uniform_kernelIS9_EEvRNS_18TensorIteratorBaseEddT_ENKUlvE_clEvENKUlvE1_clEvEUlfE_EEvSC_T1_T2_EUlP25hiprandStatePhilox4_32_10E0_ZNS1_27distribution_nullary_kernelIS7_f15HIP_vector_typeIfLj4EES9_SL_SG_EEvSC_SI_RKT3_T4_EUlifE0_EEvlNS_15PhiloxCudaStateESH_SI_
                                        ; -- End function
	.section	.AMDGPU.csdata,"",@progbits
; Kernel info:
; codeLenInByte = 4468
; NumSgprs: 74
; NumVgprs: 42
; NumAgprs: 0
; TotalNumVgprs: 42
; ScratchSize: 0
; MemoryBound: 0
; FloatMode: 240
; IeeeMode: 1
; LDSByteSize: 0 bytes/workgroup (compile time only)
; SGPRBlocks: 9
; VGPRBlocks: 5
; NumSGPRsForWavesPerEU: 74
; NumVGPRsForWavesPerEU: 42
; AccumOffset: 44
; Occupancy: 8
; WaveLimiterHint : 1
; COMPUTE_PGM_RSRC2:SCRATCH_EN: 0
; COMPUTE_PGM_RSRC2:USER_SGPR: 6
; COMPUTE_PGM_RSRC2:TRAP_HANDLER: 0
; COMPUTE_PGM_RSRC2:TGID_X_EN: 1
; COMPUTE_PGM_RSRC2:TGID_Y_EN: 0
; COMPUTE_PGM_RSRC2:TGID_Z_EN: 0
; COMPUTE_PGM_RSRC2:TIDIG_COMP_CNT: 0
; COMPUTE_PGM_RSRC3_GFX90A:ACCUM_OFFSET: 10
; COMPUTE_PGM_RSRC3_GFX90A:TG_SPLIT: 0
	.section	.text._ZN2at6native12_GLOBAL__N_143distribution_elementwise_grid_stride_kernelIfLi4EZNS0_9templates4cuda21uniform_and_transformIN3c108BFloat16EfPNS_17CUDAGeneratorImplEZZZNS4_14uniform_kernelIS9_EEvRNS_18TensorIteratorBaseEddT_ENKUlvE_clEvENKUlvE2_clEvEUlfE_EEvSC_T1_T2_EUlP25hiprandStatePhilox4_32_10E_ZNS1_27distribution_nullary_kernelIS7_f15HIP_vector_typeIdLj2EES9_SL_SG_EEvSC_SI_RKT3_T4_EUlifE_EEvlNS_15PhiloxCudaStateESH_SI_,"axG",@progbits,_ZN2at6native12_GLOBAL__N_143distribution_elementwise_grid_stride_kernelIfLi4EZNS0_9templates4cuda21uniform_and_transformIN3c108BFloat16EfPNS_17CUDAGeneratorImplEZZZNS4_14uniform_kernelIS9_EEvRNS_18TensorIteratorBaseEddT_ENKUlvE_clEvENKUlvE2_clEvEUlfE_EEvSC_T1_T2_EUlP25hiprandStatePhilox4_32_10E_ZNS1_27distribution_nullary_kernelIS7_f15HIP_vector_typeIdLj2EES9_SL_SG_EEvSC_SI_RKT3_T4_EUlifE_EEvlNS_15PhiloxCudaStateESH_SI_,comdat
	.globl	_ZN2at6native12_GLOBAL__N_143distribution_elementwise_grid_stride_kernelIfLi4EZNS0_9templates4cuda21uniform_and_transformIN3c108BFloat16EfPNS_17CUDAGeneratorImplEZZZNS4_14uniform_kernelIS9_EEvRNS_18TensorIteratorBaseEddT_ENKUlvE_clEvENKUlvE2_clEvEUlfE_EEvSC_T1_T2_EUlP25hiprandStatePhilox4_32_10E_ZNS1_27distribution_nullary_kernelIS7_f15HIP_vector_typeIdLj2EES9_SL_SG_EEvSC_SI_RKT3_T4_EUlifE_EEvlNS_15PhiloxCudaStateESH_SI_ ; -- Begin function _ZN2at6native12_GLOBAL__N_143distribution_elementwise_grid_stride_kernelIfLi4EZNS0_9templates4cuda21uniform_and_transformIN3c108BFloat16EfPNS_17CUDAGeneratorImplEZZZNS4_14uniform_kernelIS9_EEvRNS_18TensorIteratorBaseEddT_ENKUlvE_clEvENKUlvE2_clEvEUlfE_EEvSC_T1_T2_EUlP25hiprandStatePhilox4_32_10E_ZNS1_27distribution_nullary_kernelIS7_f15HIP_vector_typeIdLj2EES9_SL_SG_EEvSC_SI_RKT3_T4_EUlifE_EEvlNS_15PhiloxCudaStateESH_SI_
	.p2align	8
	.type	_ZN2at6native12_GLOBAL__N_143distribution_elementwise_grid_stride_kernelIfLi4EZNS0_9templates4cuda21uniform_and_transformIN3c108BFloat16EfPNS_17CUDAGeneratorImplEZZZNS4_14uniform_kernelIS9_EEvRNS_18TensorIteratorBaseEddT_ENKUlvE_clEvENKUlvE2_clEvEUlfE_EEvSC_T1_T2_EUlP25hiprandStatePhilox4_32_10E_ZNS1_27distribution_nullary_kernelIS7_f15HIP_vector_typeIdLj2EES9_SL_SG_EEvSC_SI_RKT3_T4_EUlifE_EEvlNS_15PhiloxCudaStateESH_SI_,@function
_ZN2at6native12_GLOBAL__N_143distribution_elementwise_grid_stride_kernelIfLi4EZNS0_9templates4cuda21uniform_and_transformIN3c108BFloat16EfPNS_17CUDAGeneratorImplEZZZNS4_14uniform_kernelIS9_EEvRNS_18TensorIteratorBaseEddT_ENKUlvE_clEvENKUlvE2_clEvEUlfE_EEvSC_T1_T2_EUlP25hiprandStatePhilox4_32_10E_ZNS1_27distribution_nullary_kernelIS7_f15HIP_vector_typeIdLj2EES9_SL_SG_EEvSC_SI_RKT3_T4_EUlifE_EEvlNS_15PhiloxCudaStateESH_SI_: ; @_ZN2at6native12_GLOBAL__N_143distribution_elementwise_grid_stride_kernelIfLi4EZNS0_9templates4cuda21uniform_and_transformIN3c108BFloat16EfPNS_17CUDAGeneratorImplEZZZNS4_14uniform_kernelIS9_EEvRNS_18TensorIteratorBaseEddT_ENKUlvE_clEvENKUlvE2_clEvEUlfE_EEvSC_T1_T2_EUlP25hiprandStatePhilox4_32_10E_ZNS1_27distribution_nullary_kernelIS7_f15HIP_vector_typeIdLj2EES9_SL_SG_EEvSC_SI_RKT3_T4_EUlifE_EEvlNS_15PhiloxCudaStateESH_SI_
; %bb.0:
	s_load_dword s7, s[4:5], 0x20
	s_load_dwordx2 s[10:11], s[4:5], 0x10
	s_load_dwordx4 s[0:3], s[4:5], 0x0
	s_mov_b32 s8, 0
	s_waitcnt lgkmcnt(0)
	s_bitcmp0_b32 s7, 0
	v_pk_mov_b32 v[2:3], s[10:11], s[10:11] op_sel:[0,1]
	v_pk_mov_b32 v[14:15], s[2:3], s[2:3] op_sel:[0,1]
	s_cbranch_scc1 .LBB12_2
; %bb.1:
	v_pk_mov_b32 v[2:3], s[10:11], s[10:11] op_sel:[0,1]
	flat_load_dwordx2 v[2:3], v[2:3]
	v_pk_mov_b32 v[4:5], s[2:3], s[2:3] op_sel:[0,1]
	flat_load_dwordx2 v[14:15], v[4:5]
	s_load_dwordx2 s[2:3], s[4:5], 0x18
	s_waitcnt lgkmcnt(0)
	v_mov_b32_e32 v1, s3
	s_waitcnt vmcnt(0)
	v_add_co_u32_e32 v2, vcc, s2, v2
	v_addc_co_u32_e32 v3, vcc, v3, v1, vcc
.LBB12_2:
	s_load_dword s2, s[4:5], 0x54
	s_load_dword s12, s[4:5], 0x48
	s_waitcnt lgkmcnt(0)
	s_and_b32 s7, s2, 0xffff
	s_add_u32 s10, s0, -1
	s_mul_i32 s14, s12, s7
	s_addc_u32 s9, s1, -1
	s_lshl_b32 s15, s14, 2
	s_cmp_lg_u64 s[8:9], 0
	s_mov_b64 s[2:3], -1
	s_cbranch_scc0 .LBB12_23
; %bb.3:
	v_cvt_f32_u32_e32 v1, s15
	v_cvt_f32_ubyte0_e32 v4, 0
	s_sub_u32 s8, 0, s15
	s_subb_u32 s11, 0, 0
	v_madmk_f32 v1, v4, 0x4f800000, v1
	v_rcp_f32_e32 v1, v1
	v_mul_f32_e32 v1, 0x5f7ffffc, v1
	v_mul_f32_e32 v4, 0x2f800000, v1
	v_trunc_f32_e32 v4, v4
	v_madmk_f32 v1, v4, 0xcf800000, v1
	v_cvt_u32_f32_e32 v4, v4
	v_cvt_u32_f32_e32 v1, v1
	v_readfirstlane_b32 s13, v4
	v_readfirstlane_b32 s16, v1
	s_mul_i32 s17, s8, s13
	s_mul_hi_u32 s19, s8, s16
	s_mul_i32 s18, s11, s16
	s_add_i32 s17, s19, s17
	s_add_i32 s17, s17, s18
	s_mul_i32 s20, s8, s16
	s_mul_hi_u32 s18, s16, s17
	s_mul_i32 s19, s16, s17
	s_mul_hi_u32 s16, s16, s20
	s_add_u32 s16, s16, s19
	s_addc_u32 s18, 0, s18
	s_mul_hi_u32 s21, s13, s20
	s_mul_i32 s20, s13, s20
	s_add_u32 s16, s16, s20
	s_mul_hi_u32 s19, s13, s17
	s_addc_u32 s16, s18, s21
	s_addc_u32 s18, s19, 0
	s_mul_i32 s17, s13, s17
	s_add_u32 s16, s16, s17
	s_addc_u32 s17, 0, s18
	v_add_co_u32_e32 v1, vcc, s16, v1
	s_cmp_lg_u64 vcc, 0
	s_addc_u32 s13, s13, s17
	v_readfirstlane_b32 s17, v1
	s_mul_i32 s16, s8, s13
	s_mul_hi_u32 s18, s8, s17
	s_add_i32 s16, s18, s16
	s_mul_i32 s11, s11, s17
	s_add_i32 s16, s16, s11
	s_mul_i32 s8, s8, s17
	s_mul_hi_u32 s18, s13, s8
	s_mul_i32 s19, s13, s8
	s_mul_i32 s21, s17, s16
	s_mul_hi_u32 s8, s17, s8
	s_mul_hi_u32 s20, s17, s16
	s_add_u32 s8, s8, s21
	s_addc_u32 s17, 0, s20
	s_add_u32 s8, s8, s19
	s_mul_hi_u32 s11, s13, s16
	s_addc_u32 s8, s17, s18
	s_addc_u32 s11, s11, 0
	s_mul_i32 s16, s13, s16
	s_add_u32 s8, s8, s16
	s_addc_u32 s11, 0, s11
	v_add_co_u32_e32 v1, vcc, s8, v1
	s_cmp_lg_u64 vcc, 0
	s_addc_u32 s11, s13, s11
	s_ashr_i32 s16, s9, 31
	s_add_u32 s8, s10, s16
	s_mov_b32 s17, s16
	s_addc_u32 s9, s9, s16
	s_xor_b64 s[8:9], s[8:9], s[16:17]
	v_readfirstlane_b32 s19, v1
	s_mul_i32 s18, s8, s11
	s_mul_hi_u32 s20, s8, s19
	s_mul_hi_u32 s13, s8, s11
	s_add_u32 s18, s20, s18
	s_addc_u32 s13, 0, s13
	s_mul_hi_u32 s21, s9, s19
	s_mul_i32 s19, s9, s19
	s_add_u32 s18, s18, s19
	s_mul_hi_u32 s20, s9, s11
	s_addc_u32 s13, s13, s21
	s_addc_u32 s18, s20, 0
	s_mul_i32 s11, s9, s11
	s_add_u32 s11, s13, s11
	s_addc_u32 s13, 0, s18
	s_add_u32 s18, s11, 1
	s_addc_u32 s19, s13, 0
	s_add_u32 s20, s11, 2
	s_mul_i32 s22, s15, s13
	s_mul_hi_u32 s23, s15, s11
	s_addc_u32 s21, s13, 0
	s_add_i32 s23, s23, s22
	s_mul_i32 s22, s15, s11
	v_mov_b32_e32 v1, s22
	v_sub_co_u32_e32 v1, vcc, s8, v1
	s_cmp_lg_u64 vcc, 0
	s_subb_u32 s8, s9, s23
	v_subrev_co_u32_e32 v4, vcc, s15, v1
	s_cmp_lg_u64 vcc, 0
	s_subb_u32 s9, s8, 0
	v_readfirstlane_b32 s22, v4
	s_cmp_ge_u32 s22, s15
	s_cselect_b32 s22, -1, 0
	s_cmp_eq_u32 s9, 0
	s_cselect_b32 s9, s22, -1
	s_cmp_lg_u32 s9, 0
	s_cselect_b32 s9, s21, s19
	v_readfirstlane_b32 s19, v1
	s_cselect_b32 s18, s20, s18
	s_cmp_ge_u32 s19, s15
	s_cselect_b32 s19, -1, 0
	s_cmp_eq_u32 s8, 0
	s_cselect_b32 s8, s19, -1
	s_cmp_lg_u32 s8, 0
	s_cselect_b32 s9, s9, s13
	s_cselect_b32 s8, s18, s11
	s_xor_b64 s[8:9], s[8:9], s[16:17]
	s_sub_u32 s8, s8, s16
	s_subb_u32 s9, s9, s16
	s_cbranch_execnz .LBB12_5
.LBB12_4:
	v_cvt_f32_u32_e32 v1, s15
	s_sub_i32 s2, 0, s15
	s_mov_b32 s9, 0
	v_rcp_iflag_f32_e32 v1, v1
	v_mul_f32_e32 v1, 0x4f7ffffe, v1
	v_cvt_u32_f32_e32 v1, v1
	v_readfirstlane_b32 s3, v1
	s_mul_i32 s2, s2, s3
	s_mul_hi_u32 s2, s3, s2
	s_add_i32 s3, s3, s2
	s_mul_hi_u32 s2, s10, s3
	s_mul_i32 s8, s2, s15
	s_sub_i32 s8, s10, s8
	s_add_i32 s3, s2, 1
	s_sub_i32 s10, s8, s15
	s_cmp_ge_u32 s8, s15
	s_cselect_b32 s2, s3, s2
	s_cselect_b32 s8, s10, s8
	s_add_i32 s3, s2, 1
	s_cmp_ge_u32 s8, s15
	s_cselect_b32 s8, s3, s2
.LBB12_5:
	v_mov_b32_e32 v1, 0
	v_mov_b32_e32 v4, s6
	v_mad_u64_u32 v[16:17], s[2:3], s7, v4, v[0:1]
	s_add_u32 s2, s8, 1
	s_addc_u32 s3, s9, 0
	s_mul_hi_u32 s8, s12, s7
	s_mul_i32 s3, s14, s3
	s_mul_hi_u32 s9, s14, s2
	s_add_i32 s3, s9, s3
	s_mul_i32 s8, s8, s2
	s_add_i32 s3, s3, s8
	s_mul_i32 s2, s14, s2
	s_lshl_b64 s[2:3], s[2:3], 2
	v_cmp_gt_i64_e32 vcc, s[2:3], v[16:17]
	s_and_saveexec_b64 s[8:9], vcc
	s_cbranch_execz .LBB12_22
; %bb.6:
	s_load_dwordx4 s[8:11], s[4:5], 0x30
	s_load_dword s13, s[4:5], 0x40
	s_mov_b32 s4, 0x5384540f
	v_mov_b32_e32 v4, v15
	v_add_co_u32_e32 v22, vcc, s4, v14
	s_mov_b32 s4, 0x646e171e
	v_add_co_u32_e32 v23, vcc, s4, v4
	s_mov_b32 s4, 0x1715609d
	;; [unrolled: 2-line block ×6, first 2 shown]
	v_alignbit_b32 v29, v3, v2, 2
	s_mov_b32 s18, 0xd2511f53
	v_add_co_u32_e32 v28, vcc, s4, v14
	v_mad_u64_u32 v[6:7], s[4:5], v29, s18, 0
	v_xor_b32_e32 v1, v7, v15
	v_xor_b32_e32 v1, v1, v17
	s_mov_b32 s19, 0xcd9e8d57
	v_mad_u64_u32 v[8:9], s[4:5], v1, s19, 0
	v_xor_b32_e32 v1, v28, v9
	v_mad_u64_u32 v[10:11], s[4:5], v16, s19, 0
	v_and_b32_e32 v18, 3, v2
	v_xor_b32_e32 v1, v1, v10
	v_xor_b32_e32 v2, v14, v11
	v_lshrrev_b32_e32 v30, 2, v3
	v_mad_u64_u32 v[12:13], s[4:5], v1, s18, 0
	v_xor_b32_e32 v2, v2, v30
	v_xor_b32_e32 v1, v27, v13
	v_mad_u64_u32 v[2:3], s[4:5], v2, s18, 0
	v_xor_b32_e32 v1, v1, v2
	v_mad_u64_u32 v[10:11], s[4:5], v1, s19, 0
	s_mov_b32 s4, 0xbb67ae85
	v_add_co_u32_e32 v31, vcc, s4, v4
	v_xor_b32_e32 v2, v31, v3
	v_xor_b32_e32 v2, v2, v6
	v_xor_b32_e32 v1, v26, v11
	v_mad_u64_u32 v[2:3], s[4:5], v2, s19, 0
	v_xor_b32_e32 v1, v1, v2
	v_mad_u64_u32 v[6:7], s[4:5], v1, s18, 0
	s_mov_b32 s4, 0x3c6ef372
	v_add_co_u32_e32 v32, vcc, s4, v14
	v_xor_b32_e32 v2, v32, v3
	;; [unrolled: 8-line block ×6, first 2 shown]
	v_add_co_u32_e32 v21, vcc, 0xdb3d7428, v4
	v_xor_b32_e32 v2, v2, v8
	v_xor_b32_e32 v1, v21, v7
	v_mad_u64_u32 v[2:3], s[4:5], v2, s18, 0
	v_xor_b32_e32 v1, v1, v2
	v_mad_u64_u32 v[8:9], s[4:5], v1, s19, 0
	s_mov_b32 s4, 0x1fd5c5a3
	v_add_co_u32_e32 v37, vcc, s4, v4
	v_xor_b32_e32 v1, v37, v3
	v_xor_b32_e32 v1, v1, v12
	v_mad_u64_u32 v[2:3], s[4:5], v1, s19, 0
	s_mov_b32 s4, 0xf1bbcdc8
	v_add_u32_e32 v19, 0x8ff34781, v14
	v_xor_b32_e32 v1, v9, v2
	v_add_co_u32_e32 v38, vcc, s4, v14
	v_xor_b32_e32 v2, v19, v1
	v_xor_b32_e32 v1, v38, v3
	v_xor_b32_e32 v1, v1, v10
	v_mad_u64_u32 v[10:11], s[4:5], v1, s18, 0
	v_add_u32_e32 v20, 0x96a522ad, v15
	v_xor_b32_e32 v1, v11, v6
	s_mul_i32 s4, s6, s7
	v_xor_b32_e32 v4, v20, v1
	v_add_u32_e32 v1, s4, v0
	s_waitcnt lgkmcnt(0)
	s_mul_i32 s4, s12, s10
	s_mul_i32 s4, s4, s7
	s_lshl_b32 s22, s4, 2
	s_add_i32 s4, s6, s12
	s_mul_i32 s4, s4, s7
	s_mov_b32 s16, 0
	v_add_u32_e32 v0, s4, v0
	s_and_b32 s17, s13, 0xffff
	v_mov_b32_e32 v3, v8
	v_mov_b32_e32 v5, v10
	s_lshl_b32 s20, s13, 16
	s_pack_lh_b32_b16 s21, 0, s13
	v_mul_lo_u32 v39, s10, v1
	v_mul_lo_u32 v40, s10, v0
	s_mov_b64 s[4:5], 0
	s_movk_i32 s10, 0x7fff
	v_mov_b32_e32 v41, 0x7fc0
	s_mov_b32 s23, s16
	v_mov_b32_e32 v42, v16
	v_mov_b32_e32 v43, v17
	s_branch .LBB12_8
.LBB12_7:                               ;   in Loop: Header=BB12_8 Depth=1
	s_or_b64 exec, exec, s[6:7]
	v_add_co_u32_e32 v16, vcc, s15, v16
	v_addc_co_u32_e32 v17, vcc, 0, v17, vcc
	v_mov_b32_e32 v9, v0
	s_add_i32 s23, s23, s22
	v_cmp_le_i64_e32 vcc, s[2:3], v[16:17]
	v_pk_mov_b32 v[2:3], v[6:7], v[6:7] op_sel:[0,1]
	s_or_b64 s[4:5], vcc, s[4:5]
	v_pk_mov_b32 v[4:5], v[8:9], v[8:9] op_sel:[0,1]
	s_barrier
	s_andn2_b64 exec, exec, s[4:5]
	s_cbranch_execz .LBB12_22
.LBB12_8:                               ; =>This Inner Loop Header: Depth=1
	v_add_co_u32_e32 v29, vcc, 1, v29
	v_cndmask_b32_e64 v0, 0, 1, vcc
	v_addc_co_u32_e32 v30, vcc, 0, v30, vcc
	v_cmp_eq_u32_e32 vcc, 0, v30
	v_cndmask_b32_e32 v0, 0, v0, vcc
	v_add_u32_e32 v42, v0, v42
	v_cmp_eq_u32_e32 vcc, 0, v42
	v_cndmask_b32_e32 v0, 0, v0, vcc
	v_add_u32_e32 v43, v0, v43
	v_mad_u64_u32 v[0:1], s[6:7], v29, s18, 0
	v_mad_u64_u32 v[6:7], s[6:7], v42, s19, 0
	v_xor_b32_e32 v1, v1, v15
	v_xor_b32_e32 v7, v7, v14
	v_xor_b32_e32 v1, v43, v1
	v_xor_b32_e32 v7, v30, v7
	v_mad_u64_u32 v[10:11], s[6:7], v1, s19, 0
	v_mad_u64_u32 v[8:9], s[6:7], v7, s18, 0
	v_xor_b32_e32 v1, v28, v11
	v_xor_b32_e32 v1, v1, v6
	v_xor_b32_e32 v6, v31, v9
	v_xor_b32_e32 v6, v6, v0
	;; [unrolled: 6-line block ×10, first 2 shown]
	v_mov_b32_e32 v7, v12
	v_mov_b32_e32 v8, v13
	v_cmp_lt_i32_e32 vcc, 1, v18
	s_and_saveexec_b64 s[6:7], vcc
	s_xor_b64 s[6:7], exec, s[6:7]
	s_cbranch_execnz .LBB12_14
; %bb.9:                                ;   in Loop: Header=BB12_8 Depth=1
	s_andn2_saveexec_b64 s[6:7], s[6:7]
	s_cbranch_execnz .LBB12_19
.LBB12_10:                              ;   in Loop: Header=BB12_8 Depth=1
	s_or_b64 exec, exec, s[6:7]
	v_cmp_gt_i64_e32 vcc, s[0:1], v[16:17]
	s_and_saveexec_b64 s[6:7], vcc
	s_cbranch_execz .LBB12_12
.LBB12_11:                              ;   in Loop: Header=BB12_8 Depth=1
	v_lshrrev_b32_e32 v1, 11, v3
	v_cvt_f64_u32_e32 v[10:11], v1
	v_ldexp_f64 v[10:11], v[10:11], 32
	v_cvt_f64_u32_e32 v[2:3], v2
	v_add_f64 v[2:3], v[10:11], v[2:3]
	v_mov_b32_e32 v10, 0
	v_mov_b32_e32 v11, 0x3ca00000
	v_fmac_f64_e32 v[10:11], 0x3ca00000, v[2:3]
	v_add_u32_e32 v2, s23, v39
	v_ashrrev_i32_e32 v3, 31, v2
	v_mov_b32_e32 v9, s9
	v_add_co_u32_e32 v2, vcc, s8, v2
	v_cvt_f32_f64_e32 v1, v[10:11]
	v_addc_co_u32_e32 v3, vcc, v9, v3, vcc
	v_mov_b32_e32 v9, s20
	v_fma_f32 v1, s11, v1, v9
	v_bfe_u32 v9, v1, 16, 1
	v_add3_u32 v9, v1, v9, s10
	v_lshrrev_b32_e32 v9, 16, v9
	v_cmp_o_f32_e32 vcc, v1, v1
	v_cndmask_b32_e32 v1, v41, v9, vcc
	v_lshlrev_b32_e32 v9, 16, v1
	v_mov_b32_e32 v10, s17
	v_cmp_eq_f32_e32 vcc, s21, v9
	v_cndmask_b32_e32 v1, v1, v10, vcc
	global_store_short v[2:3], v1, off
.LBB12_12:                              ;   in Loop: Header=BB12_8 Depth=1
	s_or_b64 exec, exec, s[6:7]
	v_mov_b32_e32 v1, s16
	v_add_co_u32_e32 v2, vcc, s14, v16
	v_addc_co_u32_e32 v3, vcc, v1, v17, vcc
	v_cmp_gt_i64_e32 vcc, s[0:1], v[2:3]
	s_and_saveexec_b64 s[6:7], vcc
	s_cbranch_execz .LBB12_7
; %bb.13:                               ;   in Loop: Header=BB12_8 Depth=1
	v_lshrrev_b32_e32 v1, 11, v5
	v_cvt_f64_u32_e32 v[2:3], v1
	v_ldexp_f64 v[2:3], v[2:3], 32
	v_cvt_f64_u32_e32 v[4:5], v4
	v_add_f64 v[2:3], v[2:3], v[4:5]
	v_mov_b32_e32 v4, 0
	v_mov_b32_e32 v5, 0x3ca00000
	v_fmac_f64_e32 v[4:5], 0x3ca00000, v[2:3]
	v_add_u32_e32 v2, s23, v40
	v_cvt_f32_f64_e32 v1, v[4:5]
	v_ashrrev_i32_e32 v3, 31, v2
	v_mov_b32_e32 v4, s9
	v_add_co_u32_e32 v2, vcc, s8, v2
	v_addc_co_u32_e32 v3, vcc, v4, v3, vcc
	v_mov_b32_e32 v4, s20
	v_fma_f32 v1, s11, v1, v4
	v_bfe_u32 v4, v1, 16, 1
	v_add3_u32 v4, v1, v4, s10
	v_lshrrev_b32_e32 v4, 16, v4
	v_cmp_o_f32_e32 vcc, v1, v1
	v_cndmask_b32_e32 v1, v41, v4, vcc
	v_lshlrev_b32_e32 v4, 16, v1
	v_mov_b32_e32 v5, s17
	v_cmp_eq_f32_e32 vcc, s21, v4
	v_cndmask_b32_e32 v1, v1, v5, vcc
	global_store_short v[2:3], v1, off
	s_branch .LBB12_7
.LBB12_14:                              ;   in Loop: Header=BB12_8 Depth=1
	v_cmp_lt_i32_e32 vcc, 2, v18
	s_and_saveexec_b64 s[12:13], vcc
	s_xor_b64 s[12:13], exec, s[12:13]
; %bb.15:                               ;   in Loop: Header=BB12_8 Depth=1
	v_mov_b32_e32 v10, v5
	v_mov_b32_e32 v11, v6
	v_pk_mov_b32 v[2:3], v[10:11], v[10:11] op_sel:[0,1]
	v_pk_mov_b32 v[4:5], v[12:13], v[12:13] op_sel:[0,1]
                                        ; implicit-def: $vgpr12_vgpr13
; %bb.16:                               ;   in Loop: Header=BB12_8 Depth=1
	s_andn2_saveexec_b64 s[12:13], s[12:13]
; %bb.17:                               ;   in Loop: Header=BB12_8 Depth=1
	v_mov_b32_e32 v2, v4
	v_mov_b32_e32 v3, v5
	;; [unrolled: 1-line block ×4, first 2 shown]
; %bb.18:                               ;   in Loop: Header=BB12_8 Depth=1
	s_or_b64 exec, exec, s[12:13]
	s_andn2_saveexec_b64 s[6:7], s[6:7]
	s_cbranch_execz .LBB12_10
.LBB12_19:                              ;   in Loop: Header=BB12_8 Depth=1
	v_cmp_eq_u32_e32 vcc, 1, v18
	s_and_saveexec_b64 s[12:13], vcc
; %bb.20:                               ;   in Loop: Header=BB12_8 Depth=1
	v_mov_b32_e32 v2, v3
	v_mov_b32_e32 v3, v4
	v_mov_b32_e32 v4, v5
	v_mov_b32_e32 v5, v6
; %bb.21:                               ;   in Loop: Header=BB12_8 Depth=1
	s_or_b64 exec, exec, s[12:13]
	s_or_b64 exec, exec, s[6:7]
	v_cmp_gt_i64_e32 vcc, s[0:1], v[16:17]
	s_and_saveexec_b64 s[6:7], vcc
	s_cbranch_execnz .LBB12_11
	s_branch .LBB12_12
.LBB12_22:
	s_endpgm
.LBB12_23:
                                        ; implicit-def: $sgpr8_sgpr9
	s_andn2_b64 vcc, exec, s[2:3]
	s_cbranch_vccz .LBB12_4
	s_branch .LBB12_5
	.section	.rodata,"a",@progbits
	.p2align	6, 0x0
	.amdhsa_kernel _ZN2at6native12_GLOBAL__N_143distribution_elementwise_grid_stride_kernelIfLi4EZNS0_9templates4cuda21uniform_and_transformIN3c108BFloat16EfPNS_17CUDAGeneratorImplEZZZNS4_14uniform_kernelIS9_EEvRNS_18TensorIteratorBaseEddT_ENKUlvE_clEvENKUlvE2_clEvEUlfE_EEvSC_T1_T2_EUlP25hiprandStatePhilox4_32_10E_ZNS1_27distribution_nullary_kernelIS7_f15HIP_vector_typeIdLj2EES9_SL_SG_EEvSC_SI_RKT3_T4_EUlifE_EEvlNS_15PhiloxCudaStateESH_SI_
		.amdhsa_group_segment_fixed_size 0
		.amdhsa_private_segment_fixed_size 0
		.amdhsa_kernarg_size 328
		.amdhsa_user_sgpr_count 6
		.amdhsa_user_sgpr_private_segment_buffer 1
		.amdhsa_user_sgpr_dispatch_ptr 0
		.amdhsa_user_sgpr_queue_ptr 0
		.amdhsa_user_sgpr_kernarg_segment_ptr 1
		.amdhsa_user_sgpr_dispatch_id 0
		.amdhsa_user_sgpr_flat_scratch_init 0
		.amdhsa_user_sgpr_kernarg_preload_length 0
		.amdhsa_user_sgpr_kernarg_preload_offset 0
		.amdhsa_user_sgpr_private_segment_size 0
		.amdhsa_uses_dynamic_stack 0
		.amdhsa_system_sgpr_private_segment_wavefront_offset 0
		.amdhsa_system_sgpr_workgroup_id_x 1
		.amdhsa_system_sgpr_workgroup_id_y 0
		.amdhsa_system_sgpr_workgroup_id_z 0
		.amdhsa_system_sgpr_workgroup_info 0
		.amdhsa_system_vgpr_workitem_id 0
		.amdhsa_next_free_vgpr 46
		.amdhsa_next_free_sgpr 24
		.amdhsa_accum_offset 48
		.amdhsa_reserve_vcc 1
		.amdhsa_reserve_flat_scratch 0
		.amdhsa_float_round_mode_32 0
		.amdhsa_float_round_mode_16_64 0
		.amdhsa_float_denorm_mode_32 3
		.amdhsa_float_denorm_mode_16_64 3
		.amdhsa_dx10_clamp 1
		.amdhsa_ieee_mode 1
		.amdhsa_fp16_overflow 0
		.amdhsa_tg_split 0
		.amdhsa_exception_fp_ieee_invalid_op 0
		.amdhsa_exception_fp_denorm_src 0
		.amdhsa_exception_fp_ieee_div_zero 0
		.amdhsa_exception_fp_ieee_overflow 0
		.amdhsa_exception_fp_ieee_underflow 0
		.amdhsa_exception_fp_ieee_inexact 0
		.amdhsa_exception_int_div_zero 0
	.end_amdhsa_kernel
	.section	.text._ZN2at6native12_GLOBAL__N_143distribution_elementwise_grid_stride_kernelIfLi4EZNS0_9templates4cuda21uniform_and_transformIN3c108BFloat16EfPNS_17CUDAGeneratorImplEZZZNS4_14uniform_kernelIS9_EEvRNS_18TensorIteratorBaseEddT_ENKUlvE_clEvENKUlvE2_clEvEUlfE_EEvSC_T1_T2_EUlP25hiprandStatePhilox4_32_10E_ZNS1_27distribution_nullary_kernelIS7_f15HIP_vector_typeIdLj2EES9_SL_SG_EEvSC_SI_RKT3_T4_EUlifE_EEvlNS_15PhiloxCudaStateESH_SI_,"axG",@progbits,_ZN2at6native12_GLOBAL__N_143distribution_elementwise_grid_stride_kernelIfLi4EZNS0_9templates4cuda21uniform_and_transformIN3c108BFloat16EfPNS_17CUDAGeneratorImplEZZZNS4_14uniform_kernelIS9_EEvRNS_18TensorIteratorBaseEddT_ENKUlvE_clEvENKUlvE2_clEvEUlfE_EEvSC_T1_T2_EUlP25hiprandStatePhilox4_32_10E_ZNS1_27distribution_nullary_kernelIS7_f15HIP_vector_typeIdLj2EES9_SL_SG_EEvSC_SI_RKT3_T4_EUlifE_EEvlNS_15PhiloxCudaStateESH_SI_,comdat
.Lfunc_end12:
	.size	_ZN2at6native12_GLOBAL__N_143distribution_elementwise_grid_stride_kernelIfLi4EZNS0_9templates4cuda21uniform_and_transformIN3c108BFloat16EfPNS_17CUDAGeneratorImplEZZZNS4_14uniform_kernelIS9_EEvRNS_18TensorIteratorBaseEddT_ENKUlvE_clEvENKUlvE2_clEvEUlfE_EEvSC_T1_T2_EUlP25hiprandStatePhilox4_32_10E_ZNS1_27distribution_nullary_kernelIS7_f15HIP_vector_typeIdLj2EES9_SL_SG_EEvSC_SI_RKT3_T4_EUlifE_EEvlNS_15PhiloxCudaStateESH_SI_, .Lfunc_end12-_ZN2at6native12_GLOBAL__N_143distribution_elementwise_grid_stride_kernelIfLi4EZNS0_9templates4cuda21uniform_and_transformIN3c108BFloat16EfPNS_17CUDAGeneratorImplEZZZNS4_14uniform_kernelIS9_EEvRNS_18TensorIteratorBaseEddT_ENKUlvE_clEvENKUlvE2_clEvEUlfE_EEvSC_T1_T2_EUlP25hiprandStatePhilox4_32_10E_ZNS1_27distribution_nullary_kernelIS7_f15HIP_vector_typeIdLj2EES9_SL_SG_EEvSC_SI_RKT3_T4_EUlifE_EEvlNS_15PhiloxCudaStateESH_SI_
                                        ; -- End function
	.section	.AMDGPU.csdata,"",@progbits
; Kernel info:
; codeLenInByte = 2404
; NumSgprs: 28
; NumVgprs: 46
; NumAgprs: 0
; TotalNumVgprs: 46
; ScratchSize: 0
; MemoryBound: 0
; FloatMode: 240
; IeeeMode: 1
; LDSByteSize: 0 bytes/workgroup (compile time only)
; SGPRBlocks: 3
; VGPRBlocks: 5
; NumSGPRsForWavesPerEU: 28
; NumVGPRsForWavesPerEU: 46
; AccumOffset: 48
; Occupancy: 8
; WaveLimiterHint : 0
; COMPUTE_PGM_RSRC2:SCRATCH_EN: 0
; COMPUTE_PGM_RSRC2:USER_SGPR: 6
; COMPUTE_PGM_RSRC2:TRAP_HANDLER: 0
; COMPUTE_PGM_RSRC2:TGID_X_EN: 1
; COMPUTE_PGM_RSRC2:TGID_Y_EN: 0
; COMPUTE_PGM_RSRC2:TGID_Z_EN: 0
; COMPUTE_PGM_RSRC2:TIDIG_COMP_CNT: 0
; COMPUTE_PGM_RSRC3_GFX90A:ACCUM_OFFSET: 11
; COMPUTE_PGM_RSRC3_GFX90A:TG_SPLIT: 0
	.section	.text._ZN2at6native12_GLOBAL__N_143distribution_elementwise_grid_stride_kernelIfLi4EZNS0_9templates4cuda21uniform_and_transformIN3c108BFloat16EfPNS_17CUDAGeneratorImplEZZZNS4_14uniform_kernelIS9_EEvRNS_18TensorIteratorBaseEddT_ENKUlvE_clEvENKUlvE2_clEvEUlfE_EEvSC_T1_T2_EUlP25hiprandStatePhilox4_32_10E_ZNS1_27distribution_nullary_kernelIS7_f15HIP_vector_typeIdLj2EES9_SL_SG_EEvSC_SI_RKT3_T4_EUlifE0_EEvlNS_15PhiloxCudaStateESH_SI_,"axG",@progbits,_ZN2at6native12_GLOBAL__N_143distribution_elementwise_grid_stride_kernelIfLi4EZNS0_9templates4cuda21uniform_and_transformIN3c108BFloat16EfPNS_17CUDAGeneratorImplEZZZNS4_14uniform_kernelIS9_EEvRNS_18TensorIteratorBaseEddT_ENKUlvE_clEvENKUlvE2_clEvEUlfE_EEvSC_T1_T2_EUlP25hiprandStatePhilox4_32_10E_ZNS1_27distribution_nullary_kernelIS7_f15HIP_vector_typeIdLj2EES9_SL_SG_EEvSC_SI_RKT3_T4_EUlifE0_EEvlNS_15PhiloxCudaStateESH_SI_,comdat
	.globl	_ZN2at6native12_GLOBAL__N_143distribution_elementwise_grid_stride_kernelIfLi4EZNS0_9templates4cuda21uniform_and_transformIN3c108BFloat16EfPNS_17CUDAGeneratorImplEZZZNS4_14uniform_kernelIS9_EEvRNS_18TensorIteratorBaseEddT_ENKUlvE_clEvENKUlvE2_clEvEUlfE_EEvSC_T1_T2_EUlP25hiprandStatePhilox4_32_10E_ZNS1_27distribution_nullary_kernelIS7_f15HIP_vector_typeIdLj2EES9_SL_SG_EEvSC_SI_RKT3_T4_EUlifE0_EEvlNS_15PhiloxCudaStateESH_SI_ ; -- Begin function _ZN2at6native12_GLOBAL__N_143distribution_elementwise_grid_stride_kernelIfLi4EZNS0_9templates4cuda21uniform_and_transformIN3c108BFloat16EfPNS_17CUDAGeneratorImplEZZZNS4_14uniform_kernelIS9_EEvRNS_18TensorIteratorBaseEddT_ENKUlvE_clEvENKUlvE2_clEvEUlfE_EEvSC_T1_T2_EUlP25hiprandStatePhilox4_32_10E_ZNS1_27distribution_nullary_kernelIS7_f15HIP_vector_typeIdLj2EES9_SL_SG_EEvSC_SI_RKT3_T4_EUlifE0_EEvlNS_15PhiloxCudaStateESH_SI_
	.p2align	8
	.type	_ZN2at6native12_GLOBAL__N_143distribution_elementwise_grid_stride_kernelIfLi4EZNS0_9templates4cuda21uniform_and_transformIN3c108BFloat16EfPNS_17CUDAGeneratorImplEZZZNS4_14uniform_kernelIS9_EEvRNS_18TensorIteratorBaseEddT_ENKUlvE_clEvENKUlvE2_clEvEUlfE_EEvSC_T1_T2_EUlP25hiprandStatePhilox4_32_10E_ZNS1_27distribution_nullary_kernelIS7_f15HIP_vector_typeIdLj2EES9_SL_SG_EEvSC_SI_RKT3_T4_EUlifE0_EEvlNS_15PhiloxCudaStateESH_SI_,@function
_ZN2at6native12_GLOBAL__N_143distribution_elementwise_grid_stride_kernelIfLi4EZNS0_9templates4cuda21uniform_and_transformIN3c108BFloat16EfPNS_17CUDAGeneratorImplEZZZNS4_14uniform_kernelIS9_EEvRNS_18TensorIteratorBaseEddT_ENKUlvE_clEvENKUlvE2_clEvEUlfE_EEvSC_T1_T2_EUlP25hiprandStatePhilox4_32_10E_ZNS1_27distribution_nullary_kernelIS7_f15HIP_vector_typeIdLj2EES9_SL_SG_EEvSC_SI_RKT3_T4_EUlifE0_EEvlNS_15PhiloxCudaStateESH_SI_: ; @_ZN2at6native12_GLOBAL__N_143distribution_elementwise_grid_stride_kernelIfLi4EZNS0_9templates4cuda21uniform_and_transformIN3c108BFloat16EfPNS_17CUDAGeneratorImplEZZZNS4_14uniform_kernelIS9_EEvRNS_18TensorIteratorBaseEddT_ENKUlvE_clEvENKUlvE2_clEvEUlfE_EEvSC_T1_T2_EUlP25hiprandStatePhilox4_32_10E_ZNS1_27distribution_nullary_kernelIS7_f15HIP_vector_typeIdLj2EES9_SL_SG_EEvSC_SI_RKT3_T4_EUlifE0_EEvlNS_15PhiloxCudaStateESH_SI_
; %bb.0:
	s_load_dword s2, s[4:5], 0x20
	s_load_dwordx2 s[0:1], s[4:5], 0x10
	s_load_dwordx4 s[24:27], s[4:5], 0x0
	s_waitcnt lgkmcnt(0)
	s_bitcmp0_b32 s2, 0
	s_mov_b32 s2, 0
	v_pk_mov_b32 v[2:3], s[0:1], s[0:1] op_sel:[0,1]
	v_pk_mov_b32 v[12:13], s[26:27], s[26:27] op_sel:[0,1]
	s_cbranch_scc1 .LBB13_2
; %bb.1:
	v_pk_mov_b32 v[2:3], s[0:1], s[0:1] op_sel:[0,1]
	flat_load_dwordx2 v[2:3], v[2:3]
	v_pk_mov_b32 v[4:5], s[26:27], s[26:27] op_sel:[0,1]
	flat_load_dwordx2 v[12:13], v[4:5]
	s_load_dwordx2 s[0:1], s[4:5], 0x18
	s_waitcnt lgkmcnt(0)
	v_mov_b32_e32 v1, s1
	s_waitcnt vmcnt(0)
	v_add_co_u32_e32 v2, vcc, s0, v2
	v_addc_co_u32_e32 v3, vcc, v3, v1, vcc
.LBB13_2:
	s_load_dword s0, s[4:5], 0x154
	s_load_dword s7, s[4:5], 0x148
	s_waitcnt lgkmcnt(0)
	s_and_b32 s8, s0, 0xffff
	s_add_u32 s9, s24, -1
	s_mul_i32 s33, s7, s8
	s_addc_u32 s3, s25, -1
	s_lshl_b32 s60, s33, 2
	s_cmp_lg_u64 s[2:3], 0
	s_mov_b64 s[0:1], -1
	s_cbranch_scc0 .LBB13_51
; %bb.3:
	v_cvt_f32_u32_e32 v1, s60
	v_cvt_f32_ubyte0_e32 v4, 0
	s_sub_u32 s2, 0, s60
	s_subb_u32 s10, 0, 0
	v_madmk_f32 v1, v4, 0x4f800000, v1
	v_rcp_f32_e32 v1, v1
	v_mul_f32_e32 v1, 0x5f7ffffc, v1
	v_mul_f32_e32 v4, 0x2f800000, v1
	v_trunc_f32_e32 v4, v4
	v_madmk_f32 v1, v4, 0xcf800000, v1
	v_cvt_u32_f32_e32 v4, v4
	v_cvt_u32_f32_e32 v1, v1
	v_readfirstlane_b32 s11, v4
	v_readfirstlane_b32 s12, v1
	s_mul_i32 s13, s2, s11
	s_mul_hi_u32 s15, s2, s12
	s_mul_i32 s14, s10, s12
	s_add_i32 s13, s15, s13
	s_add_i32 s13, s13, s14
	s_mul_i32 s16, s2, s12
	s_mul_hi_u32 s14, s12, s13
	s_mul_i32 s15, s12, s13
	s_mul_hi_u32 s12, s12, s16
	s_add_u32 s12, s12, s15
	s_addc_u32 s14, 0, s14
	s_mul_hi_u32 s17, s11, s16
	s_mul_i32 s16, s11, s16
	s_add_u32 s12, s12, s16
	s_mul_hi_u32 s15, s11, s13
	s_addc_u32 s12, s14, s17
	s_addc_u32 s14, s15, 0
	s_mul_i32 s13, s11, s13
	s_add_u32 s12, s12, s13
	s_addc_u32 s13, 0, s14
	v_add_co_u32_e32 v1, vcc, s12, v1
	s_cmp_lg_u64 vcc, 0
	s_addc_u32 s11, s11, s13
	v_readfirstlane_b32 s13, v1
	s_mul_i32 s12, s2, s11
	s_mul_hi_u32 s14, s2, s13
	s_add_i32 s12, s14, s12
	s_mul_i32 s10, s10, s13
	s_add_i32 s12, s12, s10
	s_mul_i32 s2, s2, s13
	s_mul_hi_u32 s14, s11, s2
	s_mul_i32 s15, s11, s2
	s_mul_i32 s17, s13, s12
	s_mul_hi_u32 s2, s13, s2
	s_mul_hi_u32 s16, s13, s12
	s_add_u32 s2, s2, s17
	s_addc_u32 s13, 0, s16
	s_add_u32 s2, s2, s15
	s_mul_hi_u32 s10, s11, s12
	s_addc_u32 s2, s13, s14
	s_addc_u32 s10, s10, 0
	s_mul_i32 s12, s11, s12
	s_add_u32 s2, s2, s12
	s_addc_u32 s10, 0, s10
	v_add_co_u32_e32 v1, vcc, s2, v1
	s_cmp_lg_u64 vcc, 0
	s_addc_u32 s12, s11, s10
	s_ashr_i32 s10, s3, 31
	s_add_u32 s2, s9, s10
	s_mov_b32 s11, s10
	s_addc_u32 s3, s3, s10
	s_xor_b64 s[2:3], s[2:3], s[10:11]
	v_readfirstlane_b32 s15, v1
	s_mul_i32 s14, s2, s12
	s_mul_hi_u32 s16, s2, s15
	s_mul_hi_u32 s13, s2, s12
	s_add_u32 s14, s16, s14
	s_addc_u32 s13, 0, s13
	s_mul_hi_u32 s17, s3, s15
	s_mul_i32 s15, s3, s15
	s_add_u32 s14, s14, s15
	s_mul_hi_u32 s16, s3, s12
	s_addc_u32 s13, s13, s17
	s_addc_u32 s14, s16, 0
	s_mul_i32 s12, s3, s12
	s_add_u32 s12, s13, s12
	s_addc_u32 s13, 0, s14
	s_add_u32 s14, s12, 1
	s_addc_u32 s15, s13, 0
	s_add_u32 s16, s12, 2
	s_mul_i32 s18, s60, s13
	s_mul_hi_u32 s19, s60, s12
	s_addc_u32 s17, s13, 0
	s_add_i32 s19, s19, s18
	s_mul_i32 s18, s60, s12
	v_mov_b32_e32 v1, s18
	v_sub_co_u32_e32 v1, vcc, s2, v1
	s_cmp_lg_u64 vcc, 0
	s_subb_u32 s2, s3, s19
	v_subrev_co_u32_e32 v4, vcc, s60, v1
	s_cmp_lg_u64 vcc, 0
	s_subb_u32 s3, s2, 0
	v_readfirstlane_b32 s18, v4
	s_cmp_ge_u32 s18, s60
	s_cselect_b32 s18, -1, 0
	s_cmp_eq_u32 s3, 0
	s_cselect_b32 s3, s18, -1
	s_cmp_lg_u32 s3, 0
	s_cselect_b32 s3, s17, s15
	v_readfirstlane_b32 s15, v1
	s_cselect_b32 s14, s16, s14
	s_cmp_ge_u32 s15, s60
	s_cselect_b32 s15, -1, 0
	s_cmp_eq_u32 s2, 0
	s_cselect_b32 s2, s15, -1
	s_cmp_lg_u32 s2, 0
	s_cselect_b32 s3, s3, s13
	s_cselect_b32 s2, s14, s12
	s_xor_b64 s[2:3], s[2:3], s[10:11]
	s_sub_u32 s2, s2, s10
	s_subb_u32 s3, s3, s10
	s_cbranch_execnz .LBB13_5
.LBB13_4:
	v_cvt_f32_u32_e32 v1, s60
	s_sub_i32 s0, 0, s60
	s_mov_b32 s3, 0
	v_rcp_iflag_f32_e32 v1, v1
	v_mul_f32_e32 v1, 0x4f7ffffe, v1
	v_cvt_u32_f32_e32 v1, v1
	v_readfirstlane_b32 s1, v1
	s_mul_i32 s0, s0, s1
	s_mul_hi_u32 s0, s1, s0
	s_add_i32 s1, s1, s0
	s_mul_hi_u32 s0, s9, s1
	s_mul_i32 s2, s0, s60
	s_sub_i32 s2, s9, s2
	s_add_i32 s1, s0, 1
	s_sub_i32 s9, s2, s60
	s_cmp_ge_u32 s2, s60
	s_cselect_b32 s0, s1, s0
	s_cselect_b32 s2, s9, s2
	s_add_i32 s1, s0, 1
	s_cmp_ge_u32 s2, s60
	s_cselect_b32 s2, s1, s0
.LBB13_5:
	v_mov_b32_e32 v1, 0
	v_mov_b32_e32 v4, s6
	v_mad_u64_u32 v[14:15], s[0:1], s8, v4, v[0:1]
	s_add_u32 s0, s2, 1
	s_addc_u32 s1, s3, 0
	s_mul_hi_u32 s2, s7, s8
	s_mul_i32 s1, s33, s1
	s_mul_hi_u32 s3, s33, s0
	s_add_i32 s1, s3, s1
	s_mul_i32 s2, s2, s0
	s_add_i32 s1, s1, s2
	s_mul_i32 s0, s33, s0
	s_lshl_b64 s[26:27], s[0:1], 2
	v_cmp_gt_i64_e32 vcc, s[26:27], v[14:15]
	s_and_saveexec_b64 s[0:1], vcc
	s_cbranch_execz .LBB13_50
; %bb.6:
	s_mov_b32 s0, 0x5384540f
	v_mov_b32_e32 v0, v13
	v_add_co_u32_e32 v22, vcc, s0, v12
	s_mov_b32 s0, 0x646e171e
	v_add_co_u32_e32 v23, vcc, s0, v0
	s_mov_b32 s0, 0x1715609d
	;; [unrolled: 2-line block ×6, first 2 shown]
	v_alignbit_b32 v29, v3, v2, 2
	s_mov_b32 s62, 0xd2511f53
	v_add_co_u32_e32 v28, vcc, s0, v12
	v_mad_u64_u32 v[4:5], s[0:1], v29, s62, 0
	v_xor_b32_e32 v1, v5, v13
	v_xor_b32_e32 v1, v1, v15
	s_mov_b32 s63, 0xcd9e8d57
	v_mad_u64_u32 v[6:7], s[0:1], v1, s63, 0
	v_xor_b32_e32 v1, v28, v7
	v_mad_u64_u32 v[8:9], s[0:1], v14, s63, 0
	v_and_b32_e32 v18, 3, v2
	v_xor_b32_e32 v1, v1, v8
	v_xor_b32_e32 v2, v12, v9
	v_lshrrev_b32_e32 v30, 2, v3
	v_mad_u64_u32 v[10:11], s[0:1], v1, s62, 0
	v_xor_b32_e32 v2, v2, v30
	v_xor_b32_e32 v1, v27, v11
	v_mad_u64_u32 v[2:3], s[0:1], v2, s62, 0
	v_xor_b32_e32 v1, v1, v2
	v_mad_u64_u32 v[8:9], s[0:1], v1, s63, 0
	s_mov_b32 s0, 0xbb67ae85
	v_add_co_u32_e32 v31, vcc, s0, v0
	v_xor_b32_e32 v2, v31, v3
	v_xor_b32_e32 v2, v2, v4
	v_xor_b32_e32 v1, v26, v9
	v_mad_u64_u32 v[2:3], s[0:1], v2, s63, 0
	v_xor_b32_e32 v1, v1, v2
	v_mad_u64_u32 v[4:5], s[0:1], v1, s62, 0
	s_mov_b32 s0, 0x3c6ef372
	v_add_co_u32_e32 v32, vcc, s0, v12
	v_xor_b32_e32 v2, v32, v3
	;; [unrolled: 8-line block ×6, first 2 shown]
	v_add_co_u32_e32 v21, vcc, 0xdb3d7428, v0
	v_xor_b32_e32 v2, v2, v6
	v_xor_b32_e32 v1, v21, v5
	v_mad_u64_u32 v[2:3], s[0:1], v2, s62, 0
	v_xor_b32_e32 v1, v1, v2
	v_mad_u64_u32 v[6:7], s[0:1], v1, s63, 0
	s_mov_b32 s0, 0x1fd5c5a3
	v_add_co_u32_e32 v37, vcc, s0, v0
	v_xor_b32_e32 v0, v37, v3
	v_xor_b32_e32 v0, v0, v10
	v_mad_u64_u32 v[0:1], s[0:1], v0, s63, 0
	s_mov_b32 s0, 0xf1bbcdc8
	s_load_dwordx8 s[8:15], s[4:5], 0x30
	v_add_co_u32_e32 v38, vcc, s0, v12
	v_xor_b32_e32 v1, v38, v1
	v_xor_b32_e32 v1, v1, v8
	s_add_u32 s34, s4, 48
	v_mad_u64_u32 v[8:9], s[0:1], v1, s62, 0
	s_addc_u32 s35, s5, 0
	s_waitcnt lgkmcnt(0)
	s_add_i32 s0, s8, -1
	s_cmp_gt_u32 s0, 1
	s_cselect_b64 s[40:41], -1, 0
	s_cmp_lg_u32 s8, 0
	s_load_dwordx2 s[46:47], s[4:5], 0xf4
	s_load_dwordx4 s[28:31], s[4:5], 0x138
	s_cselect_b64 s[42:43], -1, 0
	s_add_u32 s44, s4, 0xf4
	s_addc_u32 s45, s5, 0
	s_min_u32 s1, s0, 15
	s_cmp_gt_u32 s8, 1
	s_cselect_b64 s[48:49], -1, 0
	s_add_i32 s1, s1, 1
	s_mov_b32 s8, s13
	s_waitcnt lgkmcnt(0)
	s_lshl_b32 s13, s31, 16
	s_and_b32 s64, s1, 3
	s_cmp_lg_u32 s0, 2
	s_cselect_b64 s[50:51], -1, 0
	s_and_b32 s65, s1, 28
	v_add_u32_e32 v19, 0x8ff34781, v12
	v_add_u32_e32 v20, 0x96a522ad, v13
	v_xor_b32_e32 v0, v7, v0
	v_xor_b32_e32 v1, v9, v4
	s_cmp_lg_u32 s64, 0
	s_mov_b32 s61, 0
	v_xor_b32_e32 v0, v19, v0
	v_xor_b32_e32 v2, v20, v1
	v_mov_b32_e32 v1, v6
	v_mov_b32_e32 v3, v8
	s_pack_lh_b32_b16 s15, 0, s31
	s_mov_b64 s[52:53], 0
	s_cselect_b64 s[54:55], -1, 0
	s_movk_i32 s66, 0x7fff
	v_mov_b32_e32 v39, 0x7fc0
	v_mov_b32_e32 v40, v14
	;; [unrolled: 1-line block ×3, first 2 shown]
	s_branch .LBB13_9
.LBB13_7:                               ;   in Loop: Header=BB13_9 Depth=1
	v_lshrrev_b32_e32 v0, 11, v3
	v_cvt_f64_u32_e32 v[0:1], v0
	v_ldexp_f64 v[0:1], v[0:1], 32
	v_cvt_f64_u32_e32 v[2:3], v2
	v_add_f64 v[0:1], v[0:1], v[2:3]
	v_mov_b32_e32 v2, 0
	v_mov_b32_e32 v3, 0x3ca00000
	v_fmac_f64_e32 v[2:3], 0x3ca00000, v[0:1]
	v_cvt_f32_f64_e32 v0, v[2:3]
	v_mov_b32_e32 v1, s13
	v_fma_f32 v0, s30, v0, v1
	v_bfe_u32 v1, v0, 16, 1
	v_add3_u32 v1, v0, v1, s66
	v_lshrrev_b32_e32 v1, 16, v1
	v_cmp_o_f32_e32 vcc, v0, v0
	v_cndmask_b32_e32 v0, v39, v1, vcc
	v_lshlrev_b32_e32 v1, 16, v0
	v_mov_b32_e32 v2, s31
	v_cmp_eq_f32_e32 vcc, s15, v1
	v_cndmask_b32_e32 v0, v0, v2, vcc
	global_store_short v8, v0, s[28:29]
.LBB13_8:                               ;   in Loop: Header=BB13_9 Depth=1
	s_or_b64 exec, exec, s[36:37]
	v_add_co_u32_e32 v14, vcc, s60, v14
	v_addc_co_u32_e32 v15, vcc, 0, v15, vcc
	v_mov_b32_e32 v7, v16
	v_cmp_le_i64_e32 vcc, s[26:27], v[14:15]
	v_pk_mov_b32 v[0:1], v[4:5], v[4:5] op_sel:[0,1]
	s_or_b64 s[52:53], vcc, s[52:53]
	v_pk_mov_b32 v[2:3], v[6:7], v[6:7] op_sel:[0,1]
	s_barrier
	s_andn2_b64 exec, exec, s[52:53]
	s_cbranch_execz .LBB13_50
.LBB13_9:                               ; =>This Loop Header: Depth=1
                                        ;     Child Loop BB13_24 Depth 2
                                        ;     Child Loop BB13_30 Depth 2
                                        ;     Child Loop BB13_40 Depth 2
                                        ;     Child Loop BB13_46 Depth 2
	v_add_co_u32_e32 v29, vcc, 1, v29
	v_cndmask_b32_e64 v4, 0, 1, vcc
	v_addc_co_u32_e32 v30, vcc, 0, v30, vcc
	v_cmp_eq_u32_e32 vcc, 0, v30
	v_cndmask_b32_e32 v4, 0, v4, vcc
	v_add_u32_e32 v40, v4, v40
	v_cmp_eq_u32_e32 vcc, 0, v40
	v_cndmask_b32_e32 v4, 0, v4, vcc
	v_add_u32_e32 v41, v4, v41
	v_mad_u64_u32 v[4:5], s[0:1], v29, s62, 0
	v_mad_u64_u32 v[6:7], s[0:1], v40, s63, 0
	v_xor_b32_e32 v5, v5, v13
	v_xor_b32_e32 v7, v7, v12
	v_xor_b32_e32 v5, v41, v5
	v_xor_b32_e32 v7, v30, v7
	v_mad_u64_u32 v[10:11], s[0:1], v5, s63, 0
	v_mad_u64_u32 v[8:9], s[0:1], v7, s62, 0
	v_xor_b32_e32 v5, v28, v11
	v_xor_b32_e32 v5, v5, v6
	v_xor_b32_e32 v6, v31, v9
	v_xor_b32_e32 v6, v6, v4
	;; [unrolled: 6-line block ×10, first 2 shown]
	v_mov_b32_e32 v5, v10
	v_mov_b32_e32 v6, v11
	v_cmp_lt_i32_e32 vcc, 1, v18
	s_and_saveexec_b64 s[0:1], vcc
	s_xor_b64 s[0:1], exec, s[0:1]
	s_cbranch_execz .LBB13_15
; %bb.10:                               ;   in Loop: Header=BB13_9 Depth=1
	v_cmp_lt_i32_e32 vcc, 2, v18
	s_and_saveexec_b64 s[2:3], vcc
	s_xor_b64 s[2:3], exec, s[2:3]
; %bb.11:                               ;   in Loop: Header=BB13_9 Depth=1
	v_mov_b32_e32 v8, v3
	v_mov_b32_e32 v9, v4
	v_pk_mov_b32 v[0:1], v[8:9], v[8:9] op_sel:[0,1]
	v_pk_mov_b32 v[2:3], v[10:11], v[10:11] op_sel:[0,1]
                                        ; implicit-def: $vgpr10_vgpr11
; %bb.12:                               ;   in Loop: Header=BB13_9 Depth=1
	s_andn2_saveexec_b64 s[2:3], s[2:3]
; %bb.13:                               ;   in Loop: Header=BB13_9 Depth=1
	v_mov_b32_e32 v0, v2
	v_mov_b32_e32 v1, v3
	;; [unrolled: 1-line block ×4, first 2 shown]
; %bb.14:                               ;   in Loop: Header=BB13_9 Depth=1
	s_or_b64 exec, exec, s[2:3]
.LBB13_15:                              ;   in Loop: Header=BB13_9 Depth=1
	s_andn2_saveexec_b64 s[0:1], s[0:1]
	s_cbranch_execz .LBB13_19
; %bb.16:                               ;   in Loop: Header=BB13_9 Depth=1
	v_cmp_eq_u32_e32 vcc, 1, v18
	s_and_saveexec_b64 s[2:3], vcc
; %bb.17:                               ;   in Loop: Header=BB13_9 Depth=1
	v_mov_b32_e32 v0, v1
	v_mov_b32_e32 v1, v2
	v_mov_b32_e32 v2, v3
	v_mov_b32_e32 v3, v4
; %bb.18:                               ;   in Loop: Header=BB13_9 Depth=1
	s_or_b64 exec, exec, s[2:3]
.LBB13_19:                              ;   in Loop: Header=BB13_9 Depth=1
	s_or_b64 exec, exec, s[0:1]
	v_cndmask_b32_e64 v7, 0, 1, s[40:41]
	v_cmp_gt_i64_e32 vcc, s[24:25], v[14:15]
	v_cmp_ne_u32_e64 s[0:1], 1, v7
	s_and_saveexec_b64 s[2:3], vcc
	s_cbranch_execz .LBB13_35
; %bb.20:                               ;   in Loop: Header=BB13_9 Depth=1
	s_and_b64 vcc, exec, s[0:1]
	s_cbranch_vccnz .LBB13_26
; %bb.21:                               ;   in Loop: Header=BB13_9 Depth=1
	s_andn2_b64 vcc, exec, s[42:43]
	s_cbranch_vccnz .LBB13_27
; %bb.22:                               ;   in Loop: Header=BB13_9 Depth=1
	s_mov_b32 s6, 0
	s_andn2_b64 vcc, exec, s[50:51]
	v_mov_b32_e32 v8, 0
	s_cbranch_vccnz .LBB13_28
; %bb.23:                               ;   in Loop: Header=BB13_9 Depth=1
	s_mov_b32 s67, 0
	v_mov_b32_e32 v8, 0
	s_mov_b64 s[56:57], s[34:35]
	s_mov_b64 s[58:59], s[44:45]
	v_mov_b32_e32 v7, v14
.LBB13_24:                              ;   Parent Loop BB13_9 Depth=1
                                        ; =>  This Inner Loop Header: Depth=2
	s_load_dwordx8 s[16:23], s[56:57], 0x4
	s_load_dwordx4 s[4:7], s[56:57], 0x24
	s_load_dwordx4 s[36:39], s[58:59], 0x0
	s_add_u32 s56, s56, 48
	s_addc_u32 s57, s57, 0
	s_waitcnt lgkmcnt(0)
	v_mul_hi_u32 v9, s17, v7
	v_add_u32_e32 v9, v7, v9
	v_lshrrev_b32_e32 v9, s18, v9
	v_mul_lo_u32 v10, v9, s16
	v_mul_hi_u32 v11, s20, v9
	v_sub_u32_e32 v7, v7, v10
	v_add_u32_e32 v10, v9, v11
	v_lshrrev_b32_e32 v10, s21, v10
	v_mul_lo_u32 v11, v10, s19
	v_mul_hi_u32 v17, s23, v10
	v_sub_u32_e32 v9, v9, v11
	v_add_u32_e32 v11, v10, v17
	v_mul_lo_u32 v7, v7, s36
	v_mul_lo_u32 v9, v9, s37
	v_lshrrev_b32_e32 v11, s4, v11
	v_add3_u32 v8, v7, v8, v9
	v_mul_lo_u32 v7, v11, s22
	v_mul_hi_u32 v9, s6, v11
	v_sub_u32_e32 v7, v10, v7
	v_add_u32_e32 v9, v11, v9
	v_mul_lo_u32 v10, v7, s38
	v_lshrrev_b32_e32 v7, s7, v9
	s_add_i32 s67, s67, 4
	v_mul_lo_u32 v9, v7, s5
	s_add_u32 s58, s58, 16
	v_sub_u32_e32 v9, v11, v9
	s_addc_u32 s59, s59, 0
	v_mul_lo_u32 v9, v9, s39
	s_cmp_lg_u32 s65, s67
	v_add3_u32 v8, v10, v8, v9
	s_cbranch_scc1 .LBB13_24
; %bb.25:                               ;   in Loop: Header=BB13_9 Depth=1
	s_mov_b32 s6, s65
	s_andn2_b64 vcc, exec, s[54:55]
	s_cbranch_vccz .LBB13_29
	s_branch .LBB13_31
.LBB13_26:                              ;   in Loop: Header=BB13_9 Depth=1
                                        ; implicit-def: $vgpr8
	s_branch .LBB13_32
.LBB13_27:                              ;   in Loop: Header=BB13_9 Depth=1
	v_mov_b32_e32 v8, 0
	s_branch .LBB13_31
.LBB13_28:                              ;   in Loop: Header=BB13_9 Depth=1
	v_mov_b32_e32 v7, v14
	s_andn2_b64 vcc, exec, s[54:55]
	s_cbranch_vccnz .LBB13_31
.LBB13_29:                              ;   in Loop: Header=BB13_9 Depth=1
	s_lshl_b32 s4, s6, 2
	s_add_u32 s4, s44, s4
	s_addc_u32 s5, s45, 0
	s_mul_i32 s6, s6, 12
	s_add_u32 s6, s34, s6
	s_addc_u32 s7, s35, 0
	s_mov_b32 s16, s64
.LBB13_30:                              ;   Parent Loop BB13_9 Depth=1
                                        ; =>  This Inner Loop Header: Depth=2
	s_load_dwordx2 s[18:19], s[6:7], 0x4
	s_load_dword s17, s[6:7], 0xc
	s_load_dword s20, s[4:5], 0x0
	s_add_u32 s6, s6, 12
	s_addc_u32 s7, s7, 0
	s_waitcnt lgkmcnt(0)
	v_mul_hi_u32 v9, s19, v7
	v_add_u32_e32 v9, v7, v9
	v_lshrrev_b32_e32 v9, s17, v9
	s_add_u32 s4, s4, 4
	v_mul_lo_u32 v10, v9, s18
	s_addc_u32 s5, s5, 0
	s_add_i32 s16, s16, -1
	v_sub_u32_e32 v10, v7, v10
	s_cmp_lg_u32 s16, 0
	v_mov_b32_e32 v7, v9
	v_mad_u64_u32 v[8:9], s[18:19], v10, s20, v[8:9]
	s_cbranch_scc1 .LBB13_30
.LBB13_31:                              ;   in Loop: Header=BB13_9 Depth=1
	s_cbranch_execnz .LBB13_34
.LBB13_32:                              ;   in Loop: Header=BB13_9 Depth=1
	v_mul_hi_u32 v7, v14, s10
	v_add_u32_e32 v7, v7, v14
	v_lshrrev_b32_e32 v7, s11, v7
	v_mul_lo_u32 v8, v7, s9
	v_sub_u32_e32 v8, v14, v8
	s_andn2_b64 vcc, exec, s[48:49]
	v_mul_lo_u32 v8, v8, s46
	s_cbranch_vccnz .LBB13_34
; %bb.33:                               ;   in Loop: Header=BB13_9 Depth=1
	v_mul_hi_u32 v9, s8, v7
	v_add_u32_e32 v9, v7, v9
	v_lshrrev_b32_e32 v9, s14, v9
	v_mul_lo_u32 v9, v9, s12
	v_sub_u32_e32 v7, v7, v9
	v_mad_u64_u32 v[8:9], s[4:5], v7, s47, v[8:9]
.LBB13_34:                              ;   in Loop: Header=BB13_9 Depth=1
	v_lshrrev_b32_e32 v1, 11, v1
	v_cvt_f64_u32_e32 v[10:11], v1
	v_ldexp_f64 v[10:11], v[10:11], 32
	v_cvt_f64_u32_e32 v[0:1], v0
	v_add_f64 v[0:1], v[10:11], v[0:1]
	v_mov_b32_e32 v10, 0
	v_mov_b32_e32 v11, 0x3ca00000
	v_fmac_f64_e32 v[10:11], 0x3ca00000, v[0:1]
	v_cvt_f32_f64_e32 v0, v[10:11]
	v_mov_b32_e32 v1, s13
	v_fma_f32 v0, s30, v0, v1
	v_bfe_u32 v1, v0, 16, 1
	v_add3_u32 v1, v0, v1, s66
	v_lshrrev_b32_e32 v1, 16, v1
	v_cmp_o_f32_e32 vcc, v0, v0
	v_cndmask_b32_e32 v0, v39, v1, vcc
	v_lshlrev_b32_e32 v1, 16, v0
	v_mov_b32_e32 v7, s31
	v_cmp_eq_f32_e32 vcc, s15, v1
	v_cndmask_b32_e32 v0, v0, v7, vcc
	global_store_short v8, v0, s[28:29]
.LBB13_35:                              ;   in Loop: Header=BB13_9 Depth=1
	s_or_b64 exec, exec, s[2:3]
	v_mov_b32_e32 v1, s61
	v_add_co_u32_e32 v0, vcc, s33, v14
	v_addc_co_u32_e32 v1, vcc, v15, v1, vcc
	v_cmp_gt_i64_e32 vcc, s[24:25], v[0:1]
	s_and_saveexec_b64 s[36:37], vcc
	s_cbranch_execz .LBB13_8
; %bb.36:                               ;   in Loop: Header=BB13_9 Depth=1
	s_and_b64 vcc, exec, s[0:1]
	s_cbranch_vccnz .LBB13_42
; %bb.37:                               ;   in Loop: Header=BB13_9 Depth=1
	s_andn2_b64 vcc, exec, s[42:43]
	s_cbranch_vccnz .LBB13_43
; %bb.38:                               ;   in Loop: Header=BB13_9 Depth=1
	s_mov_b32 s2, 0
	s_andn2_b64 vcc, exec, s[50:51]
	v_mov_b32_e32 v8, 0
	s_cbranch_vccnz .LBB13_44
; %bb.39:                               ;   in Loop: Header=BB13_9 Depth=1
	s_mov_b32 s58, 0
	v_mov_b32_e32 v8, 0
	s_mov_b64 s[38:39], s[34:35]
	s_mov_b64 s[56:57], s[44:45]
	v_mov_b32_e32 v1, v0
.LBB13_40:                              ;   Parent Loop BB13_9 Depth=1
                                        ; =>  This Inner Loop Header: Depth=2
	s_load_dwordx8 s[0:7], s[38:39], 0x4
	s_load_dwordx4 s[16:19], s[38:39], 0x24
	s_load_dwordx4 s[20:23], s[56:57], 0x0
	s_add_u32 s38, s38, 48
	s_addc_u32 s39, s39, 0
	s_waitcnt lgkmcnt(0)
	v_mul_hi_u32 v7, s1, v1
	v_add_u32_e32 v7, v1, v7
	v_lshrrev_b32_e32 v7, s2, v7
	v_mul_lo_u32 v9, v7, s0
	v_mul_hi_u32 v10, s4, v7
	v_sub_u32_e32 v1, v1, v9
	v_add_u32_e32 v9, v7, v10
	v_lshrrev_b32_e32 v9, s5, v9
	v_mul_lo_u32 v10, v9, s3
	v_mul_hi_u32 v11, s7, v9
	v_sub_u32_e32 v7, v7, v10
	v_add_u32_e32 v10, v9, v11
	v_mul_lo_u32 v1, v1, s20
	v_mul_lo_u32 v7, v7, s21
	v_lshrrev_b32_e32 v10, s16, v10
	v_add3_u32 v7, v1, v8, v7
	v_mul_lo_u32 v1, v10, s6
	v_mul_hi_u32 v8, s18, v10
	v_sub_u32_e32 v1, v9, v1
	v_add_u32_e32 v8, v10, v8
	v_mul_lo_u32 v9, v1, s22
	v_lshrrev_b32_e32 v1, s19, v8
	s_add_i32 s58, s58, 4
	v_mul_lo_u32 v8, v1, s17
	s_add_u32 s56, s56, 16
	v_sub_u32_e32 v8, v10, v8
	s_addc_u32 s57, s57, 0
	v_mul_lo_u32 v8, v8, s23
	s_cmp_eq_u32 s65, s58
	v_add3_u32 v8, v9, v7, v8
	s_cbranch_scc0 .LBB13_40
; %bb.41:                               ;   in Loop: Header=BB13_9 Depth=1
	s_mov_b32 s2, s65
	s_andn2_b64 vcc, exec, s[54:55]
	s_cbranch_vccz .LBB13_45
	s_branch .LBB13_47
.LBB13_42:                              ;   in Loop: Header=BB13_9 Depth=1
                                        ; implicit-def: $vgpr8
	s_branch .LBB13_48
.LBB13_43:                              ;   in Loop: Header=BB13_9 Depth=1
	v_mov_b32_e32 v8, 0
	s_branch .LBB13_47
.LBB13_44:                              ;   in Loop: Header=BB13_9 Depth=1
	v_mov_b32_e32 v1, v0
	s_andn2_b64 vcc, exec, s[54:55]
	s_cbranch_vccnz .LBB13_47
.LBB13_45:                              ;   in Loop: Header=BB13_9 Depth=1
	s_lshl_b32 s0, s2, 2
	s_add_u32 s0, s44, s0
	s_addc_u32 s1, s45, 0
	s_mul_i32 s2, s2, 12
	s_add_u32 s2, s34, s2
	s_addc_u32 s3, s35, 0
	s_mov_b32 s4, s64
.LBB13_46:                              ;   Parent Loop BB13_9 Depth=1
                                        ; =>  This Inner Loop Header: Depth=2
	s_load_dwordx2 s[6:7], s[2:3], 0x4
	s_load_dword s5, s[2:3], 0xc
	s_load_dword s16, s[0:1], 0x0
	s_add_u32 s2, s2, 12
	s_addc_u32 s3, s3, 0
	s_waitcnt lgkmcnt(0)
	v_mul_hi_u32 v7, s7, v1
	v_add_u32_e32 v7, v1, v7
	v_lshrrev_b32_e32 v7, s5, v7
	s_add_u32 s0, s0, 4
	v_mul_lo_u32 v9, v7, s6
	s_addc_u32 s1, s1, 0
	s_add_i32 s4, s4, -1
	v_sub_u32_e32 v9, v1, v9
	s_cmp_lg_u32 s4, 0
	v_mov_b32_e32 v1, v7
	v_mad_u64_u32 v[8:9], s[6:7], v9, s16, v[8:9]
	s_cbranch_scc1 .LBB13_46
.LBB13_47:                              ;   in Loop: Header=BB13_9 Depth=1
	s_cbranch_execnz .LBB13_7
.LBB13_48:                              ;   in Loop: Header=BB13_9 Depth=1
	v_mul_hi_u32 v1, v0, s10
	v_add_u32_e32 v1, v1, v0
	v_lshrrev_b32_e32 v1, s11, v1
	v_mul_lo_u32 v7, v1, s9
	v_sub_u32_e32 v0, v0, v7
	s_andn2_b64 vcc, exec, s[48:49]
	v_mul_lo_u32 v8, v0, s46
	s_cbranch_vccnz .LBB13_7
; %bb.49:                               ;   in Loop: Header=BB13_9 Depth=1
	v_mul_hi_u32 v0, s8, v1
	v_add_u32_e32 v0, v1, v0
	v_lshrrev_b32_e32 v0, s14, v0
	v_mul_lo_u32 v0, v0, s12
	v_sub_u32_e32 v0, v1, v0
	v_mad_u64_u32 v[8:9], s[0:1], v0, s47, v[8:9]
	s_branch .LBB13_7
.LBB13_50:
	s_endpgm
.LBB13_51:
                                        ; implicit-def: $sgpr2_sgpr3
	s_andn2_b64 vcc, exec, s[0:1]
	s_cbranch_vccz .LBB13_4
	s_branch .LBB13_5
	.section	.rodata,"a",@progbits
	.p2align	6, 0x0
	.amdhsa_kernel _ZN2at6native12_GLOBAL__N_143distribution_elementwise_grid_stride_kernelIfLi4EZNS0_9templates4cuda21uniform_and_transformIN3c108BFloat16EfPNS_17CUDAGeneratorImplEZZZNS4_14uniform_kernelIS9_EEvRNS_18TensorIteratorBaseEddT_ENKUlvE_clEvENKUlvE2_clEvEUlfE_EEvSC_T1_T2_EUlP25hiprandStatePhilox4_32_10E_ZNS1_27distribution_nullary_kernelIS7_f15HIP_vector_typeIdLj2EES9_SL_SG_EEvSC_SI_RKT3_T4_EUlifE0_EEvlNS_15PhiloxCudaStateESH_SI_
		.amdhsa_group_segment_fixed_size 0
		.amdhsa_private_segment_fixed_size 0
		.amdhsa_kernarg_size 584
		.amdhsa_user_sgpr_count 6
		.amdhsa_user_sgpr_private_segment_buffer 1
		.amdhsa_user_sgpr_dispatch_ptr 0
		.amdhsa_user_sgpr_queue_ptr 0
		.amdhsa_user_sgpr_kernarg_segment_ptr 1
		.amdhsa_user_sgpr_dispatch_id 0
		.amdhsa_user_sgpr_flat_scratch_init 0
		.amdhsa_user_sgpr_kernarg_preload_length 0
		.amdhsa_user_sgpr_kernarg_preload_offset 0
		.amdhsa_user_sgpr_private_segment_size 0
		.amdhsa_uses_dynamic_stack 0
		.amdhsa_system_sgpr_private_segment_wavefront_offset 0
		.amdhsa_system_sgpr_workgroup_id_x 1
		.amdhsa_system_sgpr_workgroup_id_y 0
		.amdhsa_system_sgpr_workgroup_id_z 0
		.amdhsa_system_sgpr_workgroup_info 0
		.amdhsa_system_vgpr_workitem_id 0
		.amdhsa_next_free_vgpr 42
		.amdhsa_next_free_sgpr 68
		.amdhsa_accum_offset 44
		.amdhsa_reserve_vcc 1
		.amdhsa_reserve_flat_scratch 0
		.amdhsa_float_round_mode_32 0
		.amdhsa_float_round_mode_16_64 0
		.amdhsa_float_denorm_mode_32 3
		.amdhsa_float_denorm_mode_16_64 3
		.amdhsa_dx10_clamp 1
		.amdhsa_ieee_mode 1
		.amdhsa_fp16_overflow 0
		.amdhsa_tg_split 0
		.amdhsa_exception_fp_ieee_invalid_op 0
		.amdhsa_exception_fp_denorm_src 0
		.amdhsa_exception_fp_ieee_div_zero 0
		.amdhsa_exception_fp_ieee_overflow 0
		.amdhsa_exception_fp_ieee_underflow 0
		.amdhsa_exception_fp_ieee_inexact 0
		.amdhsa_exception_int_div_zero 0
	.end_amdhsa_kernel
	.section	.text._ZN2at6native12_GLOBAL__N_143distribution_elementwise_grid_stride_kernelIfLi4EZNS0_9templates4cuda21uniform_and_transformIN3c108BFloat16EfPNS_17CUDAGeneratorImplEZZZNS4_14uniform_kernelIS9_EEvRNS_18TensorIteratorBaseEddT_ENKUlvE_clEvENKUlvE2_clEvEUlfE_EEvSC_T1_T2_EUlP25hiprandStatePhilox4_32_10E_ZNS1_27distribution_nullary_kernelIS7_f15HIP_vector_typeIdLj2EES9_SL_SG_EEvSC_SI_RKT3_T4_EUlifE0_EEvlNS_15PhiloxCudaStateESH_SI_,"axG",@progbits,_ZN2at6native12_GLOBAL__N_143distribution_elementwise_grid_stride_kernelIfLi4EZNS0_9templates4cuda21uniform_and_transformIN3c108BFloat16EfPNS_17CUDAGeneratorImplEZZZNS4_14uniform_kernelIS9_EEvRNS_18TensorIteratorBaseEddT_ENKUlvE_clEvENKUlvE2_clEvEUlfE_EEvSC_T1_T2_EUlP25hiprandStatePhilox4_32_10E_ZNS1_27distribution_nullary_kernelIS7_f15HIP_vector_typeIdLj2EES9_SL_SG_EEvSC_SI_RKT3_T4_EUlifE0_EEvlNS_15PhiloxCudaStateESH_SI_,comdat
.Lfunc_end13:
	.size	_ZN2at6native12_GLOBAL__N_143distribution_elementwise_grid_stride_kernelIfLi4EZNS0_9templates4cuda21uniform_and_transformIN3c108BFloat16EfPNS_17CUDAGeneratorImplEZZZNS4_14uniform_kernelIS9_EEvRNS_18TensorIteratorBaseEddT_ENKUlvE_clEvENKUlvE2_clEvEUlfE_EEvSC_T1_T2_EUlP25hiprandStatePhilox4_32_10E_ZNS1_27distribution_nullary_kernelIS7_f15HIP_vector_typeIdLj2EES9_SL_SG_EEvSC_SI_RKT3_T4_EUlifE0_EEvlNS_15PhiloxCudaStateESH_SI_, .Lfunc_end13-_ZN2at6native12_GLOBAL__N_143distribution_elementwise_grid_stride_kernelIfLi4EZNS0_9templates4cuda21uniform_and_transformIN3c108BFloat16EfPNS_17CUDAGeneratorImplEZZZNS4_14uniform_kernelIS9_EEvRNS_18TensorIteratorBaseEddT_ENKUlvE_clEvENKUlvE2_clEvEUlfE_EEvSC_T1_T2_EUlP25hiprandStatePhilox4_32_10E_ZNS1_27distribution_nullary_kernelIS7_f15HIP_vector_typeIdLj2EES9_SL_SG_EEvSC_SI_RKT3_T4_EUlifE0_EEvlNS_15PhiloxCudaStateESH_SI_
                                        ; -- End function
	.section	.AMDGPU.csdata,"",@progbits
; Kernel info:
; codeLenInByte = 3416
; NumSgprs: 72
; NumVgprs: 42
; NumAgprs: 0
; TotalNumVgprs: 42
; ScratchSize: 0
; MemoryBound: 0
; FloatMode: 240
; IeeeMode: 1
; LDSByteSize: 0 bytes/workgroup (compile time only)
; SGPRBlocks: 8
; VGPRBlocks: 5
; NumSGPRsForWavesPerEU: 72
; NumVGPRsForWavesPerEU: 42
; AccumOffset: 44
; Occupancy: 8
; WaveLimiterHint : 1
; COMPUTE_PGM_RSRC2:SCRATCH_EN: 0
; COMPUTE_PGM_RSRC2:USER_SGPR: 6
; COMPUTE_PGM_RSRC2:TRAP_HANDLER: 0
; COMPUTE_PGM_RSRC2:TGID_X_EN: 1
; COMPUTE_PGM_RSRC2:TGID_Y_EN: 0
; COMPUTE_PGM_RSRC2:TGID_Z_EN: 0
; COMPUTE_PGM_RSRC2:TIDIG_COMP_CNT: 0
; COMPUTE_PGM_RSRC3_GFX90A:ACCUM_OFFSET: 10
; COMPUTE_PGM_RSRC3_GFX90A:TG_SPLIT: 0
	.section	.text._ZN2at6native12_GLOBAL__N_143distribution_elementwise_grid_stride_kernelIfLi4EZNS0_9templates4cuda21uniform_and_transformIN3c108BFloat16EfPNS_17CUDAGeneratorImplEZZZNS4_14uniform_kernelIS9_EEvRNS_18TensorIteratorBaseEddT_ENKUlvE_clEvENKUlvE2_clEvEUlfE_EEvSC_T1_T2_EUlP25hiprandStatePhilox4_32_10E0_ZNS1_27distribution_nullary_kernelIS7_f15HIP_vector_typeIfLj4EES9_SL_SG_EEvSC_SI_RKT3_T4_EUlifE_EEvlNS_15PhiloxCudaStateESH_SI_,"axG",@progbits,_ZN2at6native12_GLOBAL__N_143distribution_elementwise_grid_stride_kernelIfLi4EZNS0_9templates4cuda21uniform_and_transformIN3c108BFloat16EfPNS_17CUDAGeneratorImplEZZZNS4_14uniform_kernelIS9_EEvRNS_18TensorIteratorBaseEddT_ENKUlvE_clEvENKUlvE2_clEvEUlfE_EEvSC_T1_T2_EUlP25hiprandStatePhilox4_32_10E0_ZNS1_27distribution_nullary_kernelIS7_f15HIP_vector_typeIfLj4EES9_SL_SG_EEvSC_SI_RKT3_T4_EUlifE_EEvlNS_15PhiloxCudaStateESH_SI_,comdat
	.globl	_ZN2at6native12_GLOBAL__N_143distribution_elementwise_grid_stride_kernelIfLi4EZNS0_9templates4cuda21uniform_and_transformIN3c108BFloat16EfPNS_17CUDAGeneratorImplEZZZNS4_14uniform_kernelIS9_EEvRNS_18TensorIteratorBaseEddT_ENKUlvE_clEvENKUlvE2_clEvEUlfE_EEvSC_T1_T2_EUlP25hiprandStatePhilox4_32_10E0_ZNS1_27distribution_nullary_kernelIS7_f15HIP_vector_typeIfLj4EES9_SL_SG_EEvSC_SI_RKT3_T4_EUlifE_EEvlNS_15PhiloxCudaStateESH_SI_ ; -- Begin function _ZN2at6native12_GLOBAL__N_143distribution_elementwise_grid_stride_kernelIfLi4EZNS0_9templates4cuda21uniform_and_transformIN3c108BFloat16EfPNS_17CUDAGeneratorImplEZZZNS4_14uniform_kernelIS9_EEvRNS_18TensorIteratorBaseEddT_ENKUlvE_clEvENKUlvE2_clEvEUlfE_EEvSC_T1_T2_EUlP25hiprandStatePhilox4_32_10E0_ZNS1_27distribution_nullary_kernelIS7_f15HIP_vector_typeIfLj4EES9_SL_SG_EEvSC_SI_RKT3_T4_EUlifE_EEvlNS_15PhiloxCudaStateESH_SI_
	.p2align	8
	.type	_ZN2at6native12_GLOBAL__N_143distribution_elementwise_grid_stride_kernelIfLi4EZNS0_9templates4cuda21uniform_and_transformIN3c108BFloat16EfPNS_17CUDAGeneratorImplEZZZNS4_14uniform_kernelIS9_EEvRNS_18TensorIteratorBaseEddT_ENKUlvE_clEvENKUlvE2_clEvEUlfE_EEvSC_T1_T2_EUlP25hiprandStatePhilox4_32_10E0_ZNS1_27distribution_nullary_kernelIS7_f15HIP_vector_typeIfLj4EES9_SL_SG_EEvSC_SI_RKT3_T4_EUlifE_EEvlNS_15PhiloxCudaStateESH_SI_,@function
_ZN2at6native12_GLOBAL__N_143distribution_elementwise_grid_stride_kernelIfLi4EZNS0_9templates4cuda21uniform_and_transformIN3c108BFloat16EfPNS_17CUDAGeneratorImplEZZZNS4_14uniform_kernelIS9_EEvRNS_18TensorIteratorBaseEddT_ENKUlvE_clEvENKUlvE2_clEvEUlfE_EEvSC_T1_T2_EUlP25hiprandStatePhilox4_32_10E0_ZNS1_27distribution_nullary_kernelIS7_f15HIP_vector_typeIfLj4EES9_SL_SG_EEvSC_SI_RKT3_T4_EUlifE_EEvlNS_15PhiloxCudaStateESH_SI_: ; @_ZN2at6native12_GLOBAL__N_143distribution_elementwise_grid_stride_kernelIfLi4EZNS0_9templates4cuda21uniform_and_transformIN3c108BFloat16EfPNS_17CUDAGeneratorImplEZZZNS4_14uniform_kernelIS9_EEvRNS_18TensorIteratorBaseEddT_ENKUlvE_clEvENKUlvE2_clEvEUlfE_EEvSC_T1_T2_EUlP25hiprandStatePhilox4_32_10E0_ZNS1_27distribution_nullary_kernelIS7_f15HIP_vector_typeIfLj4EES9_SL_SG_EEvSC_SI_RKT3_T4_EUlifE_EEvlNS_15PhiloxCudaStateESH_SI_
; %bb.0:
	s_load_dword s7, s[4:5], 0x20
	s_load_dwordx2 s[10:11], s[4:5], 0x10
	s_load_dwordx4 s[0:3], s[4:5], 0x0
	s_mov_b32 s8, 0
	s_waitcnt lgkmcnt(0)
	s_bitcmp0_b32 s7, 0
	v_pk_mov_b32 v[2:3], s[10:11], s[10:11] op_sel:[0,1]
	v_pk_mov_b32 v[14:15], s[2:3], s[2:3] op_sel:[0,1]
	s_cbranch_scc1 .LBB14_2
; %bb.1:
	v_pk_mov_b32 v[2:3], s[10:11], s[10:11] op_sel:[0,1]
	flat_load_dwordx2 v[2:3], v[2:3]
	v_pk_mov_b32 v[4:5], s[2:3], s[2:3] op_sel:[0,1]
	flat_load_dwordx2 v[14:15], v[4:5]
	s_load_dwordx2 s[2:3], s[4:5], 0x18
	s_waitcnt lgkmcnt(0)
	v_mov_b32_e32 v1, s3
	s_waitcnt vmcnt(0)
	v_add_co_u32_e32 v2, vcc, s2, v2
	v_addc_co_u32_e32 v3, vcc, v3, v1, vcc
.LBB14_2:
	s_load_dword s2, s[4:5], 0x54
	s_load_dword s12, s[4:5], 0x48
	s_waitcnt lgkmcnt(0)
	s_and_b32 s7, s2, 0xffff
	s_add_u32 s10, s0, -1
	s_mul_i32 s14, s12, s7
	s_addc_u32 s9, s1, -1
	s_lshl_b32 s15, s14, 2
	s_cmp_lg_u64 s[8:9], 0
	s_mov_b64 s[2:3], -1
	s_cbranch_scc0 .LBB14_27
; %bb.3:
	v_cvt_f32_u32_e32 v1, s15
	v_cvt_f32_ubyte0_e32 v4, 0
	s_sub_u32 s8, 0, s15
	s_subb_u32 s11, 0, 0
	v_madmk_f32 v1, v4, 0x4f800000, v1
	v_rcp_f32_e32 v1, v1
	v_mul_f32_e32 v1, 0x5f7ffffc, v1
	v_mul_f32_e32 v4, 0x2f800000, v1
	v_trunc_f32_e32 v4, v4
	v_madmk_f32 v1, v4, 0xcf800000, v1
	v_cvt_u32_f32_e32 v4, v4
	v_cvt_u32_f32_e32 v1, v1
	v_readfirstlane_b32 s13, v4
	v_readfirstlane_b32 s16, v1
	s_mul_i32 s17, s8, s13
	s_mul_hi_u32 s19, s8, s16
	s_mul_i32 s18, s11, s16
	s_add_i32 s17, s19, s17
	s_add_i32 s17, s17, s18
	s_mul_i32 s20, s8, s16
	s_mul_hi_u32 s18, s16, s17
	s_mul_i32 s19, s16, s17
	s_mul_hi_u32 s16, s16, s20
	s_add_u32 s16, s16, s19
	s_addc_u32 s18, 0, s18
	s_mul_hi_u32 s21, s13, s20
	s_mul_i32 s20, s13, s20
	s_add_u32 s16, s16, s20
	s_mul_hi_u32 s19, s13, s17
	s_addc_u32 s16, s18, s21
	s_addc_u32 s18, s19, 0
	s_mul_i32 s17, s13, s17
	s_add_u32 s16, s16, s17
	s_addc_u32 s17, 0, s18
	v_add_co_u32_e32 v1, vcc, s16, v1
	s_cmp_lg_u64 vcc, 0
	s_addc_u32 s13, s13, s17
	v_readfirstlane_b32 s17, v1
	s_mul_i32 s16, s8, s13
	s_mul_hi_u32 s18, s8, s17
	s_add_i32 s16, s18, s16
	s_mul_i32 s11, s11, s17
	s_add_i32 s16, s16, s11
	s_mul_i32 s8, s8, s17
	s_mul_hi_u32 s18, s13, s8
	s_mul_i32 s19, s13, s8
	s_mul_i32 s21, s17, s16
	s_mul_hi_u32 s8, s17, s8
	s_mul_hi_u32 s20, s17, s16
	s_add_u32 s8, s8, s21
	s_addc_u32 s17, 0, s20
	s_add_u32 s8, s8, s19
	s_mul_hi_u32 s11, s13, s16
	s_addc_u32 s8, s17, s18
	s_addc_u32 s11, s11, 0
	s_mul_i32 s16, s13, s16
	s_add_u32 s8, s8, s16
	s_addc_u32 s11, 0, s11
	v_add_co_u32_e32 v1, vcc, s8, v1
	s_cmp_lg_u64 vcc, 0
	s_addc_u32 s11, s13, s11
	s_ashr_i32 s16, s9, 31
	s_add_u32 s8, s10, s16
	s_mov_b32 s17, s16
	s_addc_u32 s9, s9, s16
	s_xor_b64 s[8:9], s[8:9], s[16:17]
	v_readfirstlane_b32 s19, v1
	s_mul_i32 s18, s8, s11
	s_mul_hi_u32 s20, s8, s19
	s_mul_hi_u32 s13, s8, s11
	s_add_u32 s18, s20, s18
	s_addc_u32 s13, 0, s13
	s_mul_hi_u32 s21, s9, s19
	s_mul_i32 s19, s9, s19
	s_add_u32 s18, s18, s19
	s_mul_hi_u32 s20, s9, s11
	s_addc_u32 s13, s13, s21
	s_addc_u32 s18, s20, 0
	s_mul_i32 s11, s9, s11
	s_add_u32 s11, s13, s11
	s_addc_u32 s13, 0, s18
	s_add_u32 s18, s11, 1
	s_addc_u32 s19, s13, 0
	s_add_u32 s20, s11, 2
	s_mul_i32 s22, s15, s13
	s_mul_hi_u32 s23, s15, s11
	s_addc_u32 s21, s13, 0
	s_add_i32 s23, s23, s22
	s_mul_i32 s22, s15, s11
	v_mov_b32_e32 v1, s22
	v_sub_co_u32_e32 v1, vcc, s8, v1
	s_cmp_lg_u64 vcc, 0
	s_subb_u32 s8, s9, s23
	v_subrev_co_u32_e32 v4, vcc, s15, v1
	s_cmp_lg_u64 vcc, 0
	s_subb_u32 s9, s8, 0
	v_readfirstlane_b32 s22, v4
	s_cmp_ge_u32 s22, s15
	s_cselect_b32 s22, -1, 0
	s_cmp_eq_u32 s9, 0
	s_cselect_b32 s9, s22, -1
	s_cmp_lg_u32 s9, 0
	s_cselect_b32 s9, s21, s19
	v_readfirstlane_b32 s19, v1
	s_cselect_b32 s18, s20, s18
	s_cmp_ge_u32 s19, s15
	s_cselect_b32 s19, -1, 0
	s_cmp_eq_u32 s8, 0
	s_cselect_b32 s8, s19, -1
	s_cmp_lg_u32 s8, 0
	s_cselect_b32 s9, s9, s13
	s_cselect_b32 s8, s18, s11
	s_xor_b64 s[8:9], s[8:9], s[16:17]
	s_sub_u32 s8, s8, s16
	s_subb_u32 s9, s9, s16
	s_cbranch_execnz .LBB14_5
.LBB14_4:
	v_cvt_f32_u32_e32 v1, s15
	s_sub_i32 s2, 0, s15
	s_mov_b32 s9, 0
	v_rcp_iflag_f32_e32 v1, v1
	v_mul_f32_e32 v1, 0x4f7ffffe, v1
	v_cvt_u32_f32_e32 v1, v1
	v_readfirstlane_b32 s3, v1
	s_mul_i32 s2, s2, s3
	s_mul_hi_u32 s2, s3, s2
	s_add_i32 s3, s3, s2
	s_mul_hi_u32 s2, s10, s3
	s_mul_i32 s8, s2, s15
	s_sub_i32 s8, s10, s8
	s_add_i32 s3, s2, 1
	s_sub_i32 s10, s8, s15
	s_cmp_ge_u32 s8, s15
	s_cselect_b32 s2, s3, s2
	s_cselect_b32 s8, s10, s8
	s_add_i32 s3, s2, 1
	s_cmp_ge_u32 s8, s15
	s_cselect_b32 s8, s3, s2
.LBB14_5:
	v_mov_b32_e32 v1, 0
	v_mov_b32_e32 v4, s6
	v_mad_u64_u32 v[16:17], s[2:3], s7, v4, v[0:1]
	s_add_u32 s2, s8, 1
	s_addc_u32 s3, s9, 0
	s_mul_hi_u32 s8, s12, s7
	s_mul_i32 s3, s14, s3
	s_mul_hi_u32 s9, s14, s2
	s_add_i32 s3, s9, s3
	s_mul_i32 s8, s8, s2
	s_add_i32 s3, s3, s8
	s_mul_i32 s2, s14, s2
	s_lshl_b64 s[2:3], s[2:3], 2
	v_cmp_gt_i64_e32 vcc, s[2:3], v[16:17]
	s_and_saveexec_b64 s[8:9], vcc
	s_cbranch_execz .LBB14_26
; %bb.6:
	s_load_dwordx4 s[8:11], s[4:5], 0x30
	s_load_dword s13, s[4:5], 0x40
	s_mov_b32 s4, 0x5384540f
	v_mov_b32_e32 v4, v15
	v_add_co_u32_e32 v22, vcc, s4, v14
	s_mov_b32 s4, 0x646e171e
	v_add_co_u32_e32 v23, vcc, s4, v4
	s_mov_b32 s4, 0x1715609d
	;; [unrolled: 2-line block ×6, first 2 shown]
	v_alignbit_b32 v29, v3, v2, 2
	s_mov_b32 s18, 0xd2511f53
	v_add_co_u32_e32 v28, vcc, s4, v14
	v_mad_u64_u32 v[6:7], s[4:5], v29, s18, 0
	v_xor_b32_e32 v1, v7, v15
	v_xor_b32_e32 v1, v1, v17
	s_mov_b32 s19, 0xcd9e8d57
	v_mad_u64_u32 v[8:9], s[4:5], v1, s19, 0
	v_xor_b32_e32 v1, v28, v9
	v_mad_u64_u32 v[10:11], s[4:5], v16, s19, 0
	v_and_b32_e32 v18, 3, v2
	v_xor_b32_e32 v1, v1, v10
	v_xor_b32_e32 v2, v14, v11
	v_lshrrev_b32_e32 v30, 2, v3
	v_mad_u64_u32 v[12:13], s[4:5], v1, s18, 0
	v_xor_b32_e32 v2, v2, v30
	v_xor_b32_e32 v1, v27, v13
	v_mad_u64_u32 v[2:3], s[4:5], v2, s18, 0
	v_xor_b32_e32 v1, v1, v2
	v_mad_u64_u32 v[10:11], s[4:5], v1, s19, 0
	s_mov_b32 s4, 0xbb67ae85
	v_add_co_u32_e32 v31, vcc, s4, v4
	v_xor_b32_e32 v2, v31, v3
	v_xor_b32_e32 v2, v2, v6
	v_xor_b32_e32 v1, v26, v11
	v_mad_u64_u32 v[2:3], s[4:5], v2, s19, 0
	v_xor_b32_e32 v1, v1, v2
	v_mad_u64_u32 v[6:7], s[4:5], v1, s18, 0
	s_mov_b32 s4, 0x3c6ef372
	v_add_co_u32_e32 v32, vcc, s4, v14
	v_xor_b32_e32 v2, v32, v3
	;; [unrolled: 8-line block ×6, first 2 shown]
	v_add_co_u32_e32 v21, vcc, 0xdb3d7428, v4
	v_xor_b32_e32 v2, v2, v8
	v_xor_b32_e32 v1, v21, v7
	v_mad_u64_u32 v[2:3], s[4:5], v2, s18, 0
	v_xor_b32_e32 v1, v1, v2
	v_mad_u64_u32 v[8:9], s[4:5], v1, s19, 0
	s_mov_b32 s4, 0x1fd5c5a3
	v_add_co_u32_e32 v37, vcc, s4, v4
	v_xor_b32_e32 v1, v37, v3
	v_xor_b32_e32 v1, v1, v12
	v_mad_u64_u32 v[2:3], s[4:5], v1, s19, 0
	s_mov_b32 s4, 0xf1bbcdc8
	v_add_u32_e32 v19, 0x8ff34781, v14
	v_xor_b32_e32 v1, v9, v2
	v_add_co_u32_e32 v38, vcc, s4, v14
	v_xor_b32_e32 v2, v19, v1
	v_xor_b32_e32 v1, v38, v3
	;; [unrolled: 1-line block ×3, first 2 shown]
	v_mad_u64_u32 v[10:11], s[4:5], v1, s18, 0
	v_add_u32_e32 v20, 0x96a522ad, v15
	v_xor_b32_e32 v1, v11, v6
	s_mul_i32 s4, s6, s7
	v_xor_b32_e32 v4, v20, v1
	v_add_u32_e32 v1, s4, v0
	s_waitcnt lgkmcnt(0)
	s_mul_i32 s4, s12, s10
	s_mul_i32 s4, s4, s7
	s_lshl_b32 s26, s4, 2
	s_mul_i32 s4, s12, 3
	s_add_i32 s4, s6, s4
	s_mul_i32 s4, s4, s7
	v_mul_lo_u32 v39, s10, v1
	v_add_u32_e32 v1, s4, v0
	s_lshl_b32 s4, s12, 1
	s_add_i32 s4, s6, s4
	s_mul_i32 s4, s4, s7
	v_mul_lo_u32 v40, s10, v1
	v_add_u32_e32 v1, s4, v0
	s_add_i32 s4, s6, s12
	s_mul_i32 s4, s4, s7
	s_mov_b32 s16, 0
	v_add_u32_e32 v0, s4, v0
	s_and_b32 s17, s13, 0xffff
	v_mov_b32_e32 v3, v8
	v_mov_b32_e32 v5, v10
	s_lshl_b32 s20, s13, 16
	s_pack_lh_b32_b16 s21, 0, s13
	s_lshl_b32 s22, s14, 1
	s_mov_b32 s23, s16
	s_mul_i32 s24, s14, 3
	s_mov_b32 s25, s16
	v_mul_lo_u32 v41, s10, v1
	v_mul_lo_u32 v42, s10, v0
	s_mov_b64 s[4:5], 0
	s_movk_i32 s10, 0x7fff
	v_mov_b32_e32 v43, 0x7fc0
	s_mov_b32 s27, s16
	v_mov_b32_e32 v44, v16
	v_mov_b32_e32 v45, v17
	s_branch .LBB14_8
.LBB14_7:                               ;   in Loop: Header=BB14_8 Depth=1
	s_or_b64 exec, exec, s[6:7]
	v_add_co_u32_e32 v16, vcc, s15, v16
	v_addc_co_u32_e32 v17, vcc, 0, v17, vcc
	v_mov_b32_e32 v9, v0
	s_add_i32 s27, s27, s26
	v_cmp_le_i64_e32 vcc, s[2:3], v[16:17]
	v_pk_mov_b32 v[2:3], v[6:7], v[6:7] op_sel:[0,1]
	s_or_b64 s[4:5], vcc, s[4:5]
	v_pk_mov_b32 v[4:5], v[8:9], v[8:9] op_sel:[0,1]
	s_barrier
	s_andn2_b64 exec, exec, s[4:5]
	s_cbranch_execz .LBB14_26
.LBB14_8:                               ; =>This Inner Loop Header: Depth=1
	v_add_co_u32_e32 v29, vcc, 1, v29
	v_cndmask_b32_e64 v0, 0, 1, vcc
	v_addc_co_u32_e32 v30, vcc, 0, v30, vcc
	v_cmp_eq_u32_e32 vcc, 0, v30
	v_cndmask_b32_e32 v0, 0, v0, vcc
	v_add_u32_e32 v44, v0, v44
	v_cmp_eq_u32_e32 vcc, 0, v44
	v_cndmask_b32_e32 v0, 0, v0, vcc
	v_add_u32_e32 v45, v0, v45
	v_mad_u64_u32 v[0:1], s[6:7], v29, s18, 0
	v_mad_u64_u32 v[6:7], s[6:7], v44, s19, 0
	v_xor_b32_e32 v1, v1, v15
	v_xor_b32_e32 v7, v7, v14
	v_xor_b32_e32 v1, v45, v1
	v_xor_b32_e32 v7, v30, v7
	v_mad_u64_u32 v[10:11], s[6:7], v1, s19, 0
	v_mad_u64_u32 v[8:9], s[6:7], v7, s18, 0
	v_xor_b32_e32 v1, v28, v11
	v_xor_b32_e32 v1, v1, v6
	v_xor_b32_e32 v6, v31, v9
	v_xor_b32_e32 v6, v6, v0
	;; [unrolled: 6-line block ×10, first 2 shown]
	v_mov_b32_e32 v7, v12
	v_mov_b32_e32 v8, v13
	v_cmp_lt_i32_e32 vcc, 1, v18
	s_and_saveexec_b64 s[6:7], vcc
	s_xor_b64 s[6:7], exec, s[6:7]
	s_cbranch_execnz .LBB14_18
; %bb.9:                                ;   in Loop: Header=BB14_8 Depth=1
	s_andn2_saveexec_b64 s[6:7], s[6:7]
	s_cbranch_execnz .LBB14_23
.LBB14_10:                              ;   in Loop: Header=BB14_8 Depth=1
	s_or_b64 exec, exec, s[6:7]
	v_cmp_gt_i64_e32 vcc, s[0:1], v[16:17]
	s_and_saveexec_b64 s[6:7], vcc
	s_cbranch_execz .LBB14_12
.LBB14_11:                              ;   in Loop: Header=BB14_8 Depth=1
	v_cvt_f32_u32_e32 v1, v2
	v_mov_b32_e32 v2, 0x2f800000
	v_add_u32_e32 v9, s27, v39
	v_ashrrev_i32_e32 v11, 31, v9
	v_fmac_f32_e32 v2, 0x2f800000, v1
	v_mov_b32_e32 v1, s9
	v_add_co_u32_e32 v10, vcc, s8, v9
	v_addc_co_u32_e32 v11, vcc, v1, v11, vcc
	v_mov_b32_e32 v1, s20
	v_fma_f32 v1, s11, v2, v1
	v_bfe_u32 v2, v1, 16, 1
	v_add3_u32 v2, v1, v2, s10
	v_lshrrev_b32_e32 v2, 16, v2
	v_cmp_o_f32_e32 vcc, v1, v1
	v_cndmask_b32_e32 v1, v43, v2, vcc
	v_lshlrev_b32_e32 v2, 16, v1
	v_mov_b32_e32 v9, s17
	v_cmp_eq_f32_e32 vcc, s21, v2
	v_cndmask_b32_e32 v1, v1, v9, vcc
	global_store_short v[10:11], v1, off
.LBB14_12:                              ;   in Loop: Header=BB14_8 Depth=1
	s_or_b64 exec, exec, s[6:7]
	v_mov_b32_e32 v1, s16
	v_add_co_u32_e32 v10, vcc, s14, v16
	v_addc_co_u32_e32 v11, vcc, v1, v17, vcc
	v_cmp_gt_i64_e32 vcc, s[0:1], v[10:11]
	s_and_saveexec_b64 s[6:7], vcc
	s_cbranch_execz .LBB14_14
; %bb.13:                               ;   in Loop: Header=BB14_8 Depth=1
	v_cvt_f32_u32_e32 v1, v3
	v_mov_b32_e32 v9, 0x2f800000
	v_add_u32_e32 v2, s27, v42
	v_ashrrev_i32_e32 v3, 31, v2
	v_fmac_f32_e32 v9, 0x2f800000, v1
	v_mov_b32_e32 v1, s9
	v_add_co_u32_e32 v2, vcc, s8, v2
	v_addc_co_u32_e32 v3, vcc, v1, v3, vcc
	v_mov_b32_e32 v1, s20
	v_fma_f32 v1, s11, v9, v1
	v_bfe_u32 v9, v1, 16, 1
	v_add3_u32 v9, v1, v9, s10
	v_lshrrev_b32_e32 v9, 16, v9
	v_cmp_o_f32_e32 vcc, v1, v1
	v_cndmask_b32_e32 v1, v43, v9, vcc
	v_lshlrev_b32_e32 v9, 16, v1
	v_mov_b32_e32 v10, s17
	v_cmp_eq_f32_e32 vcc, s21, v9
	v_cndmask_b32_e32 v1, v1, v10, vcc
	global_store_short v[2:3], v1, off
.LBB14_14:                              ;   in Loop: Header=BB14_8 Depth=1
	s_or_b64 exec, exec, s[6:7]
	v_mov_b32_e32 v1, s23
	v_add_co_u32_e32 v2, vcc, s22, v16
	v_addc_co_u32_e32 v3, vcc, v1, v17, vcc
	v_cmp_gt_i64_e32 vcc, s[0:1], v[2:3]
	s_and_saveexec_b64 s[6:7], vcc
	s_cbranch_execz .LBB14_16
; %bb.15:                               ;   in Loop: Header=BB14_8 Depth=1
	v_cvt_f32_u32_e32 v1, v4
	v_mov_b32_e32 v4, 0x2f800000
	v_add_u32_e32 v2, s27, v41
	v_ashrrev_i32_e32 v3, 31, v2
	v_fmac_f32_e32 v4, 0x2f800000, v1
	v_mov_b32_e32 v1, s9
	v_add_co_u32_e32 v2, vcc, s8, v2
	v_addc_co_u32_e32 v3, vcc, v1, v3, vcc
	v_mov_b32_e32 v1, s20
	v_fma_f32 v1, s11, v4, v1
	v_bfe_u32 v4, v1, 16, 1
	v_add3_u32 v4, v1, v4, s10
	v_lshrrev_b32_e32 v4, 16, v4
	v_cmp_o_f32_e32 vcc, v1, v1
	v_cndmask_b32_e32 v1, v43, v4, vcc
	v_lshlrev_b32_e32 v4, 16, v1
	v_mov_b32_e32 v9, s17
	v_cmp_eq_f32_e32 vcc, s21, v4
	v_cndmask_b32_e32 v1, v1, v9, vcc
	global_store_short v[2:3], v1, off
.LBB14_16:                              ;   in Loop: Header=BB14_8 Depth=1
	s_or_b64 exec, exec, s[6:7]
	v_mov_b32_e32 v1, s25
	v_add_co_u32_e32 v2, vcc, s24, v16
	v_addc_co_u32_e32 v3, vcc, v1, v17, vcc
	v_cmp_gt_i64_e32 vcc, s[0:1], v[2:3]
	s_and_saveexec_b64 s[6:7], vcc
	s_cbranch_execz .LBB14_7
; %bb.17:                               ;   in Loop: Header=BB14_8 Depth=1
	v_cvt_f32_u32_e32 v1, v5
	v_mov_b32_e32 v4, 0x2f800000
	v_add_u32_e32 v2, s27, v40
	v_ashrrev_i32_e32 v3, 31, v2
	v_fmac_f32_e32 v4, 0x2f800000, v1
	v_mov_b32_e32 v1, s9
	v_add_co_u32_e32 v2, vcc, s8, v2
	v_addc_co_u32_e32 v3, vcc, v1, v3, vcc
	v_mov_b32_e32 v1, s20
	v_fma_f32 v1, s11, v4, v1
	v_bfe_u32 v4, v1, 16, 1
	v_add3_u32 v4, v1, v4, s10
	v_lshrrev_b32_e32 v4, 16, v4
	v_cmp_o_f32_e32 vcc, v1, v1
	v_cndmask_b32_e32 v1, v43, v4, vcc
	v_lshlrev_b32_e32 v4, 16, v1
	v_mov_b32_e32 v5, s17
	v_cmp_eq_f32_e32 vcc, s21, v4
	v_cndmask_b32_e32 v1, v1, v5, vcc
	global_store_short v[2:3], v1, off
	s_branch .LBB14_7
.LBB14_18:                              ;   in Loop: Header=BB14_8 Depth=1
	v_cmp_lt_i32_e32 vcc, 2, v18
	s_and_saveexec_b64 s[12:13], vcc
	s_xor_b64 s[12:13], exec, s[12:13]
; %bb.19:                               ;   in Loop: Header=BB14_8 Depth=1
	v_mov_b32_e32 v10, v5
	v_mov_b32_e32 v11, v6
	v_pk_mov_b32 v[2:3], v[10:11], v[10:11] op_sel:[0,1]
	v_pk_mov_b32 v[4:5], v[12:13], v[12:13] op_sel:[0,1]
                                        ; implicit-def: $vgpr12_vgpr13
; %bb.20:                               ;   in Loop: Header=BB14_8 Depth=1
	s_andn2_saveexec_b64 s[12:13], s[12:13]
; %bb.21:                               ;   in Loop: Header=BB14_8 Depth=1
	v_mov_b32_e32 v2, v4
	v_mov_b32_e32 v3, v5
	v_mov_b32_e32 v4, v6
	v_mov_b32_e32 v5, v12
; %bb.22:                               ;   in Loop: Header=BB14_8 Depth=1
	s_or_b64 exec, exec, s[12:13]
	s_andn2_saveexec_b64 s[6:7], s[6:7]
	s_cbranch_execz .LBB14_10
.LBB14_23:                              ;   in Loop: Header=BB14_8 Depth=1
	v_cmp_eq_u32_e32 vcc, 1, v18
	s_and_saveexec_b64 s[12:13], vcc
; %bb.24:                               ;   in Loop: Header=BB14_8 Depth=1
	v_mov_b32_e32 v2, v3
	v_mov_b32_e32 v3, v4
	;; [unrolled: 1-line block ×4, first 2 shown]
; %bb.25:                               ;   in Loop: Header=BB14_8 Depth=1
	s_or_b64 exec, exec, s[12:13]
	s_or_b64 exec, exec, s[6:7]
	v_cmp_gt_i64_e32 vcc, s[0:1], v[16:17]
	s_and_saveexec_b64 s[6:7], vcc
	s_cbranch_execnz .LBB14_11
	s_branch .LBB14_12
.LBB14_26:
	s_endpgm
.LBB14_27:
                                        ; implicit-def: $sgpr8_sgpr9
	s_andn2_b64 vcc, exec, s[2:3]
	s_cbranch_vccz .LBB14_4
	s_branch .LBB14_5
	.section	.rodata,"a",@progbits
	.p2align	6, 0x0
	.amdhsa_kernel _ZN2at6native12_GLOBAL__N_143distribution_elementwise_grid_stride_kernelIfLi4EZNS0_9templates4cuda21uniform_and_transformIN3c108BFloat16EfPNS_17CUDAGeneratorImplEZZZNS4_14uniform_kernelIS9_EEvRNS_18TensorIteratorBaseEddT_ENKUlvE_clEvENKUlvE2_clEvEUlfE_EEvSC_T1_T2_EUlP25hiprandStatePhilox4_32_10E0_ZNS1_27distribution_nullary_kernelIS7_f15HIP_vector_typeIfLj4EES9_SL_SG_EEvSC_SI_RKT3_T4_EUlifE_EEvlNS_15PhiloxCudaStateESH_SI_
		.amdhsa_group_segment_fixed_size 0
		.amdhsa_private_segment_fixed_size 0
		.amdhsa_kernarg_size 328
		.amdhsa_user_sgpr_count 6
		.amdhsa_user_sgpr_private_segment_buffer 1
		.amdhsa_user_sgpr_dispatch_ptr 0
		.amdhsa_user_sgpr_queue_ptr 0
		.amdhsa_user_sgpr_kernarg_segment_ptr 1
		.amdhsa_user_sgpr_dispatch_id 0
		.amdhsa_user_sgpr_flat_scratch_init 0
		.amdhsa_user_sgpr_kernarg_preload_length 0
		.amdhsa_user_sgpr_kernarg_preload_offset 0
		.amdhsa_user_sgpr_private_segment_size 0
		.amdhsa_uses_dynamic_stack 0
		.amdhsa_system_sgpr_private_segment_wavefront_offset 0
		.amdhsa_system_sgpr_workgroup_id_x 1
		.amdhsa_system_sgpr_workgroup_id_y 0
		.amdhsa_system_sgpr_workgroup_id_z 0
		.amdhsa_system_sgpr_workgroup_info 0
		.amdhsa_system_vgpr_workitem_id 0
		.amdhsa_next_free_vgpr 48
		.amdhsa_next_free_sgpr 28
		.amdhsa_accum_offset 48
		.amdhsa_reserve_vcc 1
		.amdhsa_reserve_flat_scratch 0
		.amdhsa_float_round_mode_32 0
		.amdhsa_float_round_mode_16_64 0
		.amdhsa_float_denorm_mode_32 3
		.amdhsa_float_denorm_mode_16_64 3
		.amdhsa_dx10_clamp 1
		.amdhsa_ieee_mode 1
		.amdhsa_fp16_overflow 0
		.amdhsa_tg_split 0
		.amdhsa_exception_fp_ieee_invalid_op 0
		.amdhsa_exception_fp_denorm_src 0
		.amdhsa_exception_fp_ieee_div_zero 0
		.amdhsa_exception_fp_ieee_overflow 0
		.amdhsa_exception_fp_ieee_underflow 0
		.amdhsa_exception_fp_ieee_inexact 0
		.amdhsa_exception_int_div_zero 0
	.end_amdhsa_kernel
	.section	.text._ZN2at6native12_GLOBAL__N_143distribution_elementwise_grid_stride_kernelIfLi4EZNS0_9templates4cuda21uniform_and_transformIN3c108BFloat16EfPNS_17CUDAGeneratorImplEZZZNS4_14uniform_kernelIS9_EEvRNS_18TensorIteratorBaseEddT_ENKUlvE_clEvENKUlvE2_clEvEUlfE_EEvSC_T1_T2_EUlP25hiprandStatePhilox4_32_10E0_ZNS1_27distribution_nullary_kernelIS7_f15HIP_vector_typeIfLj4EES9_SL_SG_EEvSC_SI_RKT3_T4_EUlifE_EEvlNS_15PhiloxCudaStateESH_SI_,"axG",@progbits,_ZN2at6native12_GLOBAL__N_143distribution_elementwise_grid_stride_kernelIfLi4EZNS0_9templates4cuda21uniform_and_transformIN3c108BFloat16EfPNS_17CUDAGeneratorImplEZZZNS4_14uniform_kernelIS9_EEvRNS_18TensorIteratorBaseEddT_ENKUlvE_clEvENKUlvE2_clEvEUlfE_EEvSC_T1_T2_EUlP25hiprandStatePhilox4_32_10E0_ZNS1_27distribution_nullary_kernelIS7_f15HIP_vector_typeIfLj4EES9_SL_SG_EEvSC_SI_RKT3_T4_EUlifE_EEvlNS_15PhiloxCudaStateESH_SI_,comdat
.Lfunc_end14:
	.size	_ZN2at6native12_GLOBAL__N_143distribution_elementwise_grid_stride_kernelIfLi4EZNS0_9templates4cuda21uniform_and_transformIN3c108BFloat16EfPNS_17CUDAGeneratorImplEZZZNS4_14uniform_kernelIS9_EEvRNS_18TensorIteratorBaseEddT_ENKUlvE_clEvENKUlvE2_clEvEUlfE_EEvSC_T1_T2_EUlP25hiprandStatePhilox4_32_10E0_ZNS1_27distribution_nullary_kernelIS7_f15HIP_vector_typeIfLj4EES9_SL_SG_EEvSC_SI_RKT3_T4_EUlifE_EEvlNS_15PhiloxCudaStateESH_SI_, .Lfunc_end14-_ZN2at6native12_GLOBAL__N_143distribution_elementwise_grid_stride_kernelIfLi4EZNS0_9templates4cuda21uniform_and_transformIN3c108BFloat16EfPNS_17CUDAGeneratorImplEZZZNS4_14uniform_kernelIS9_EEvRNS_18TensorIteratorBaseEddT_ENKUlvE_clEvENKUlvE2_clEvEUlfE_EEvSC_T1_T2_EUlP25hiprandStatePhilox4_32_10E0_ZNS1_27distribution_nullary_kernelIS7_f15HIP_vector_typeIfLj4EES9_SL_SG_EEvSC_SI_RKT3_T4_EUlifE_EEvlNS_15PhiloxCudaStateESH_SI_
                                        ; -- End function
	.section	.AMDGPU.csdata,"",@progbits
; Kernel info:
; codeLenInByte = 2668
; NumSgprs: 32
; NumVgprs: 48
; NumAgprs: 0
; TotalNumVgprs: 48
; ScratchSize: 0
; MemoryBound: 0
; FloatMode: 240
; IeeeMode: 1
; LDSByteSize: 0 bytes/workgroup (compile time only)
; SGPRBlocks: 3
; VGPRBlocks: 5
; NumSGPRsForWavesPerEU: 32
; NumVGPRsForWavesPerEU: 48
; AccumOffset: 48
; Occupancy: 8
; WaveLimiterHint : 0
; COMPUTE_PGM_RSRC2:SCRATCH_EN: 0
; COMPUTE_PGM_RSRC2:USER_SGPR: 6
; COMPUTE_PGM_RSRC2:TRAP_HANDLER: 0
; COMPUTE_PGM_RSRC2:TGID_X_EN: 1
; COMPUTE_PGM_RSRC2:TGID_Y_EN: 0
; COMPUTE_PGM_RSRC2:TGID_Z_EN: 0
; COMPUTE_PGM_RSRC2:TIDIG_COMP_CNT: 0
; COMPUTE_PGM_RSRC3_GFX90A:ACCUM_OFFSET: 11
; COMPUTE_PGM_RSRC3_GFX90A:TG_SPLIT: 0
	.section	.text._ZN2at6native12_GLOBAL__N_143distribution_elementwise_grid_stride_kernelIfLi4EZNS0_9templates4cuda21uniform_and_transformIN3c108BFloat16EfPNS_17CUDAGeneratorImplEZZZNS4_14uniform_kernelIS9_EEvRNS_18TensorIteratorBaseEddT_ENKUlvE_clEvENKUlvE2_clEvEUlfE_EEvSC_T1_T2_EUlP25hiprandStatePhilox4_32_10E0_ZNS1_27distribution_nullary_kernelIS7_f15HIP_vector_typeIfLj4EES9_SL_SG_EEvSC_SI_RKT3_T4_EUlifE0_EEvlNS_15PhiloxCudaStateESH_SI_,"axG",@progbits,_ZN2at6native12_GLOBAL__N_143distribution_elementwise_grid_stride_kernelIfLi4EZNS0_9templates4cuda21uniform_and_transformIN3c108BFloat16EfPNS_17CUDAGeneratorImplEZZZNS4_14uniform_kernelIS9_EEvRNS_18TensorIteratorBaseEddT_ENKUlvE_clEvENKUlvE2_clEvEUlfE_EEvSC_T1_T2_EUlP25hiprandStatePhilox4_32_10E0_ZNS1_27distribution_nullary_kernelIS7_f15HIP_vector_typeIfLj4EES9_SL_SG_EEvSC_SI_RKT3_T4_EUlifE0_EEvlNS_15PhiloxCudaStateESH_SI_,comdat
	.globl	_ZN2at6native12_GLOBAL__N_143distribution_elementwise_grid_stride_kernelIfLi4EZNS0_9templates4cuda21uniform_and_transformIN3c108BFloat16EfPNS_17CUDAGeneratorImplEZZZNS4_14uniform_kernelIS9_EEvRNS_18TensorIteratorBaseEddT_ENKUlvE_clEvENKUlvE2_clEvEUlfE_EEvSC_T1_T2_EUlP25hiprandStatePhilox4_32_10E0_ZNS1_27distribution_nullary_kernelIS7_f15HIP_vector_typeIfLj4EES9_SL_SG_EEvSC_SI_RKT3_T4_EUlifE0_EEvlNS_15PhiloxCudaStateESH_SI_ ; -- Begin function _ZN2at6native12_GLOBAL__N_143distribution_elementwise_grid_stride_kernelIfLi4EZNS0_9templates4cuda21uniform_and_transformIN3c108BFloat16EfPNS_17CUDAGeneratorImplEZZZNS4_14uniform_kernelIS9_EEvRNS_18TensorIteratorBaseEddT_ENKUlvE_clEvENKUlvE2_clEvEUlfE_EEvSC_T1_T2_EUlP25hiprandStatePhilox4_32_10E0_ZNS1_27distribution_nullary_kernelIS7_f15HIP_vector_typeIfLj4EES9_SL_SG_EEvSC_SI_RKT3_T4_EUlifE0_EEvlNS_15PhiloxCudaStateESH_SI_
	.p2align	8
	.type	_ZN2at6native12_GLOBAL__N_143distribution_elementwise_grid_stride_kernelIfLi4EZNS0_9templates4cuda21uniform_and_transformIN3c108BFloat16EfPNS_17CUDAGeneratorImplEZZZNS4_14uniform_kernelIS9_EEvRNS_18TensorIteratorBaseEddT_ENKUlvE_clEvENKUlvE2_clEvEUlfE_EEvSC_T1_T2_EUlP25hiprandStatePhilox4_32_10E0_ZNS1_27distribution_nullary_kernelIS7_f15HIP_vector_typeIfLj4EES9_SL_SG_EEvSC_SI_RKT3_T4_EUlifE0_EEvlNS_15PhiloxCudaStateESH_SI_,@function
_ZN2at6native12_GLOBAL__N_143distribution_elementwise_grid_stride_kernelIfLi4EZNS0_9templates4cuda21uniform_and_transformIN3c108BFloat16EfPNS_17CUDAGeneratorImplEZZZNS4_14uniform_kernelIS9_EEvRNS_18TensorIteratorBaseEddT_ENKUlvE_clEvENKUlvE2_clEvEUlfE_EEvSC_T1_T2_EUlP25hiprandStatePhilox4_32_10E0_ZNS1_27distribution_nullary_kernelIS7_f15HIP_vector_typeIfLj4EES9_SL_SG_EEvSC_SI_RKT3_T4_EUlifE0_EEvlNS_15PhiloxCudaStateESH_SI_: ; @_ZN2at6native12_GLOBAL__N_143distribution_elementwise_grid_stride_kernelIfLi4EZNS0_9templates4cuda21uniform_and_transformIN3c108BFloat16EfPNS_17CUDAGeneratorImplEZZZNS4_14uniform_kernelIS9_EEvRNS_18TensorIteratorBaseEddT_ENKUlvE_clEvENKUlvE2_clEvEUlfE_EEvSC_T1_T2_EUlP25hiprandStatePhilox4_32_10E0_ZNS1_27distribution_nullary_kernelIS7_f15HIP_vector_typeIfLj4EES9_SL_SG_EEvSC_SI_RKT3_T4_EUlifE0_EEvlNS_15PhiloxCudaStateESH_SI_
; %bb.0:
	s_load_dword s2, s[4:5], 0x20
	s_load_dwordx2 s[0:1], s[4:5], 0x10
	s_load_dwordx4 s[24:27], s[4:5], 0x0
	s_waitcnt lgkmcnt(0)
	s_bitcmp0_b32 s2, 0
	s_mov_b32 s2, 0
	v_pk_mov_b32 v[2:3], s[0:1], s[0:1] op_sel:[0,1]
	v_pk_mov_b32 v[12:13], s[26:27], s[26:27] op_sel:[0,1]
	s_cbranch_scc1 .LBB15_2
; %bb.1:
	v_pk_mov_b32 v[2:3], s[0:1], s[0:1] op_sel:[0,1]
	flat_load_dwordx2 v[2:3], v[2:3]
	v_pk_mov_b32 v[4:5], s[26:27], s[26:27] op_sel:[0,1]
	flat_load_dwordx2 v[12:13], v[4:5]
	s_load_dwordx2 s[0:1], s[4:5], 0x18
	s_waitcnt lgkmcnt(0)
	v_mov_b32_e32 v1, s1
	s_waitcnt vmcnt(0)
	v_add_co_u32_e32 v2, vcc, s0, v2
	v_addc_co_u32_e32 v3, vcc, v3, v1, vcc
.LBB15_2:
	s_load_dword s0, s[4:5], 0x154
	s_load_dword s7, s[4:5], 0x148
	s_waitcnt lgkmcnt(0)
	s_and_b32 s8, s0, 0xffff
	s_add_u32 s9, s24, -1
	s_mul_i32 s33, s7, s8
	s_addc_u32 s3, s25, -1
	s_lshl_b32 s60, s33, 2
	s_cmp_lg_u64 s[2:3], 0
	s_mov_b64 s[0:1], -1
	s_cbranch_scc0 .LBB15_83
; %bb.3:
	v_cvt_f32_u32_e32 v1, s60
	v_cvt_f32_ubyte0_e32 v4, 0
	s_sub_u32 s2, 0, s60
	s_subb_u32 s10, 0, 0
	v_madmk_f32 v1, v4, 0x4f800000, v1
	v_rcp_f32_e32 v1, v1
	v_mul_f32_e32 v1, 0x5f7ffffc, v1
	v_mul_f32_e32 v4, 0x2f800000, v1
	v_trunc_f32_e32 v4, v4
	v_madmk_f32 v1, v4, 0xcf800000, v1
	v_cvt_u32_f32_e32 v4, v4
	v_cvt_u32_f32_e32 v1, v1
	v_readfirstlane_b32 s11, v4
	v_readfirstlane_b32 s12, v1
	s_mul_i32 s13, s2, s11
	s_mul_hi_u32 s15, s2, s12
	s_mul_i32 s14, s10, s12
	s_add_i32 s13, s15, s13
	s_add_i32 s13, s13, s14
	s_mul_i32 s16, s2, s12
	s_mul_hi_u32 s14, s12, s13
	s_mul_i32 s15, s12, s13
	s_mul_hi_u32 s12, s12, s16
	s_add_u32 s12, s12, s15
	s_addc_u32 s14, 0, s14
	s_mul_hi_u32 s17, s11, s16
	s_mul_i32 s16, s11, s16
	s_add_u32 s12, s12, s16
	s_mul_hi_u32 s15, s11, s13
	s_addc_u32 s12, s14, s17
	s_addc_u32 s14, s15, 0
	s_mul_i32 s13, s11, s13
	s_add_u32 s12, s12, s13
	s_addc_u32 s13, 0, s14
	v_add_co_u32_e32 v1, vcc, s12, v1
	s_cmp_lg_u64 vcc, 0
	s_addc_u32 s11, s11, s13
	v_readfirstlane_b32 s13, v1
	s_mul_i32 s12, s2, s11
	s_mul_hi_u32 s14, s2, s13
	s_add_i32 s12, s14, s12
	s_mul_i32 s10, s10, s13
	s_add_i32 s12, s12, s10
	s_mul_i32 s2, s2, s13
	s_mul_hi_u32 s14, s11, s2
	s_mul_i32 s15, s11, s2
	s_mul_i32 s17, s13, s12
	s_mul_hi_u32 s2, s13, s2
	s_mul_hi_u32 s16, s13, s12
	s_add_u32 s2, s2, s17
	s_addc_u32 s13, 0, s16
	s_add_u32 s2, s2, s15
	s_mul_hi_u32 s10, s11, s12
	s_addc_u32 s2, s13, s14
	s_addc_u32 s10, s10, 0
	s_mul_i32 s12, s11, s12
	s_add_u32 s2, s2, s12
	s_addc_u32 s10, 0, s10
	v_add_co_u32_e32 v1, vcc, s2, v1
	s_cmp_lg_u64 vcc, 0
	s_addc_u32 s12, s11, s10
	s_ashr_i32 s10, s3, 31
	s_add_u32 s2, s9, s10
	s_mov_b32 s11, s10
	s_addc_u32 s3, s3, s10
	s_xor_b64 s[2:3], s[2:3], s[10:11]
	v_readfirstlane_b32 s15, v1
	s_mul_i32 s14, s2, s12
	s_mul_hi_u32 s16, s2, s15
	s_mul_hi_u32 s13, s2, s12
	s_add_u32 s14, s16, s14
	s_addc_u32 s13, 0, s13
	s_mul_hi_u32 s17, s3, s15
	s_mul_i32 s15, s3, s15
	s_add_u32 s14, s14, s15
	s_mul_hi_u32 s16, s3, s12
	s_addc_u32 s13, s13, s17
	s_addc_u32 s14, s16, 0
	s_mul_i32 s12, s3, s12
	s_add_u32 s12, s13, s12
	s_addc_u32 s13, 0, s14
	s_add_u32 s14, s12, 1
	s_addc_u32 s15, s13, 0
	s_add_u32 s16, s12, 2
	s_mul_i32 s18, s60, s13
	s_mul_hi_u32 s19, s60, s12
	s_addc_u32 s17, s13, 0
	s_add_i32 s19, s19, s18
	s_mul_i32 s18, s60, s12
	v_mov_b32_e32 v1, s18
	v_sub_co_u32_e32 v1, vcc, s2, v1
	s_cmp_lg_u64 vcc, 0
	s_subb_u32 s2, s3, s19
	v_subrev_co_u32_e32 v4, vcc, s60, v1
	s_cmp_lg_u64 vcc, 0
	s_subb_u32 s3, s2, 0
	v_readfirstlane_b32 s18, v4
	s_cmp_ge_u32 s18, s60
	s_cselect_b32 s18, -1, 0
	s_cmp_eq_u32 s3, 0
	s_cselect_b32 s3, s18, -1
	s_cmp_lg_u32 s3, 0
	s_cselect_b32 s3, s17, s15
	v_readfirstlane_b32 s15, v1
	s_cselect_b32 s14, s16, s14
	s_cmp_ge_u32 s15, s60
	s_cselect_b32 s15, -1, 0
	s_cmp_eq_u32 s2, 0
	s_cselect_b32 s2, s15, -1
	s_cmp_lg_u32 s2, 0
	s_cselect_b32 s3, s3, s13
	s_cselect_b32 s2, s14, s12
	s_xor_b64 s[2:3], s[2:3], s[10:11]
	s_sub_u32 s2, s2, s10
	s_subb_u32 s3, s3, s10
	s_cbranch_execnz .LBB15_5
.LBB15_4:
	v_cvt_f32_u32_e32 v1, s60
	s_sub_i32 s0, 0, s60
	s_mov_b32 s3, 0
	v_rcp_iflag_f32_e32 v1, v1
	v_mul_f32_e32 v1, 0x4f7ffffe, v1
	v_cvt_u32_f32_e32 v1, v1
	v_readfirstlane_b32 s1, v1
	s_mul_i32 s0, s0, s1
	s_mul_hi_u32 s0, s1, s0
	s_add_i32 s1, s1, s0
	s_mul_hi_u32 s0, s9, s1
	s_mul_i32 s2, s0, s60
	s_sub_i32 s2, s9, s2
	s_add_i32 s1, s0, 1
	s_sub_i32 s9, s2, s60
	s_cmp_ge_u32 s2, s60
	s_cselect_b32 s0, s1, s0
	s_cselect_b32 s2, s9, s2
	s_add_i32 s1, s0, 1
	s_cmp_ge_u32 s2, s60
	s_cselect_b32 s2, s1, s0
.LBB15_5:
	v_mov_b32_e32 v1, 0
	v_mov_b32_e32 v4, s6
	v_mad_u64_u32 v[14:15], s[0:1], s8, v4, v[0:1]
	s_add_u32 s0, s2, 1
	s_addc_u32 s1, s3, 0
	s_mul_hi_u32 s2, s7, s8
	s_mul_i32 s1, s33, s1
	s_mul_hi_u32 s3, s33, s0
	s_add_i32 s1, s3, s1
	s_mul_i32 s2, s2, s0
	s_add_i32 s1, s1, s2
	s_mul_i32 s0, s33, s0
	s_lshl_b64 s[26:27], s[0:1], 2
	v_cmp_gt_i64_e32 vcc, s[26:27], v[14:15]
	s_and_saveexec_b64 s[0:1], vcc
	s_cbranch_execz .LBB15_82
; %bb.6:
	s_mov_b32 s0, 0x5384540f
	v_mov_b32_e32 v0, v13
	v_add_co_u32_e32 v22, vcc, s0, v12
	s_mov_b32 s0, 0x646e171e
	v_add_co_u32_e32 v23, vcc, s0, v0
	s_mov_b32 s0, 0x1715609d
	v_add_co_u32_e32 v24, vcc, s0, v12
	s_mov_b32 s0, 0xed9eba14
	v_add_co_u32_e32 v25, vcc, s0, v0
	s_mov_b32 s0, 0xdaa66d2b
	v_add_co_u32_e32 v26, vcc, s0, v12
	s_mov_b32 s0, 0x76cf5d0a
	v_add_co_u32_e32 v27, vcc, s0, v0
	s_mov_b32 s0, 0x9e3779b9
	v_alignbit_b32 v29, v3, v2, 2
	s_mov_b32 s62, 0xd2511f53
	v_add_co_u32_e32 v28, vcc, s0, v12
	v_mad_u64_u32 v[4:5], s[0:1], v29, s62, 0
	v_xor_b32_e32 v1, v5, v13
	v_xor_b32_e32 v1, v1, v15
	s_mov_b32 s63, 0xcd9e8d57
	v_mad_u64_u32 v[6:7], s[0:1], v1, s63, 0
	v_xor_b32_e32 v1, v28, v7
	v_mad_u64_u32 v[8:9], s[0:1], v14, s63, 0
	v_and_b32_e32 v18, 3, v2
	v_xor_b32_e32 v1, v1, v8
	v_xor_b32_e32 v2, v12, v9
	v_lshrrev_b32_e32 v30, 2, v3
	v_mad_u64_u32 v[10:11], s[0:1], v1, s62, 0
	v_xor_b32_e32 v2, v2, v30
	v_xor_b32_e32 v1, v27, v11
	v_mad_u64_u32 v[2:3], s[0:1], v2, s62, 0
	v_xor_b32_e32 v1, v1, v2
	v_mad_u64_u32 v[8:9], s[0:1], v1, s63, 0
	s_mov_b32 s0, 0xbb67ae85
	v_add_co_u32_e32 v31, vcc, s0, v0
	v_xor_b32_e32 v2, v31, v3
	v_xor_b32_e32 v2, v2, v4
	v_xor_b32_e32 v1, v26, v9
	v_mad_u64_u32 v[2:3], s[0:1], v2, s63, 0
	v_xor_b32_e32 v1, v1, v2
	v_mad_u64_u32 v[4:5], s[0:1], v1, s62, 0
	s_mov_b32 s0, 0x3c6ef372
	v_add_co_u32_e32 v32, vcc, s0, v12
	v_xor_b32_e32 v2, v32, v3
	;; [unrolled: 8-line block ×6, first 2 shown]
	v_add_co_u32_e32 v21, vcc, 0xdb3d7428, v0
	v_xor_b32_e32 v2, v2, v6
	v_xor_b32_e32 v1, v21, v5
	v_mad_u64_u32 v[2:3], s[0:1], v2, s62, 0
	v_xor_b32_e32 v1, v1, v2
	v_mad_u64_u32 v[6:7], s[0:1], v1, s63, 0
	s_mov_b32 s0, 0x1fd5c5a3
	v_add_co_u32_e32 v37, vcc, s0, v0
	v_xor_b32_e32 v0, v37, v3
	v_xor_b32_e32 v0, v0, v10
	v_mad_u64_u32 v[0:1], s[0:1], v0, s63, 0
	s_mov_b32 s0, 0xf1bbcdc8
	s_load_dwordx8 s[8:15], s[4:5], 0x30
	v_add_co_u32_e32 v38, vcc, s0, v12
	v_xor_b32_e32 v1, v38, v1
	v_xor_b32_e32 v1, v1, v8
	s_add_u32 s34, s4, 48
	v_mad_u64_u32 v[8:9], s[0:1], v1, s62, 0
	s_addc_u32 s35, s5, 0
	s_waitcnt lgkmcnt(0)
	s_add_i32 s0, s8, -1
	s_cmp_gt_u32 s0, 1
	s_cselect_b64 s[40:41], -1, 0
	s_cmp_lg_u32 s8, 0
	s_load_dwordx2 s[46:47], s[4:5], 0xf4
	s_load_dwordx4 s[28:31], s[4:5], 0x138
	s_cselect_b64 s[42:43], -1, 0
	s_add_u32 s44, s4, 0xf4
	s_addc_u32 s45, s5, 0
	s_min_u32 s1, s0, 15
	s_cmp_gt_u32 s8, 1
	s_cselect_b64 s[48:49], -1, 0
	s_add_i32 s1, s1, 1
	s_mov_b32 s8, s13
	s_waitcnt lgkmcnt(0)
	s_lshl_b32 s13, s31, 16
	s_lshl_b32 s64, s33, 1
	s_and_b32 s68, s1, 3
	s_cmp_lg_u32 s0, 2
	s_cselect_b64 s[50:51], -1, 0
	s_and_b32 s69, s1, 28
	s_mov_b32 s61, 0
	v_add_u32_e32 v19, 0x8ff34781, v12
	v_add_u32_e32 v20, 0x96a522ad, v13
	v_xor_b32_e32 v0, v7, v0
	v_xor_b32_e32 v1, v9, v4
	s_cmp_lg_u32 s68, 0
	v_xor_b32_e32 v0, v19, v0
	v_xor_b32_e32 v2, v20, v1
	v_mov_b32_e32 v1, v6
	v_mov_b32_e32 v3, v8
	s_pack_lh_b32_b16 s15, 0, s31
	s_mov_b32 s65, s61
	s_mul_i32 s66, s33, 3
	s_mov_b32 s67, s61
	s_mov_b64 s[52:53], 0
	s_cselect_b64 s[54:55], -1, 0
	s_movk_i32 s70, 0x7fff
	v_mov_b32_e32 v39, 0x7fc0
	v_mov_b32_e32 v40, v14
	;; [unrolled: 1-line block ×3, first 2 shown]
	s_branch .LBB15_9
.LBB15_7:                               ;   in Loop: Header=BB15_9 Depth=1
	v_cvt_f32_u32_e32 v0, v3
	v_mov_b32_e32 v1, 0x2f800000
	v_mov_b32_e32 v2, s13
	v_fmac_f32_e32 v1, 0x2f800000, v0
	v_fma_f32 v0, s30, v1, v2
	v_bfe_u32 v1, v0, 16, 1
	v_add3_u32 v1, v0, v1, s70
	v_lshrrev_b32_e32 v1, 16, v1
	v_cmp_o_f32_e32 vcc, v0, v0
	v_cndmask_b32_e32 v0, v39, v1, vcc
	v_lshlrev_b32_e32 v1, 16, v0
	v_mov_b32_e32 v2, s31
	v_cmp_eq_f32_e32 vcc, s15, v1
	v_cndmask_b32_e32 v0, v0, v2, vcc
	global_store_short v8, v0, s[28:29]
.LBB15_8:                               ;   in Loop: Header=BB15_9 Depth=1
	s_or_b64 exec, exec, s[36:37]
	v_add_co_u32_e32 v14, vcc, s60, v14
	v_addc_co_u32_e32 v15, vcc, 0, v15, vcc
	v_mov_b32_e32 v7, v16
	v_cmp_le_i64_e32 vcc, s[26:27], v[14:15]
	v_pk_mov_b32 v[0:1], v[4:5], v[4:5] op_sel:[0,1]
	s_or_b64 s[52:53], vcc, s[52:53]
	v_pk_mov_b32 v[2:3], v[6:7], v[6:7] op_sel:[0,1]
	s_barrier
	s_andn2_b64 exec, exec, s[52:53]
	s_cbranch_execz .LBB15_82
.LBB15_9:                               ; =>This Loop Header: Depth=1
                                        ;     Child Loop BB15_24 Depth 2
                                        ;     Child Loop BB15_30 Depth 2
	;; [unrolled: 1-line block ×8, first 2 shown]
	v_add_co_u32_e32 v29, vcc, 1, v29
	v_cndmask_b32_e64 v4, 0, 1, vcc
	v_addc_co_u32_e32 v30, vcc, 0, v30, vcc
	v_cmp_eq_u32_e32 vcc, 0, v30
	v_cndmask_b32_e32 v4, 0, v4, vcc
	v_add_u32_e32 v40, v4, v40
	v_cmp_eq_u32_e32 vcc, 0, v40
	v_cndmask_b32_e32 v4, 0, v4, vcc
	v_add_u32_e32 v41, v4, v41
	v_mad_u64_u32 v[4:5], s[0:1], v29, s62, 0
	v_mad_u64_u32 v[6:7], s[0:1], v40, s63, 0
	v_xor_b32_e32 v5, v5, v13
	v_xor_b32_e32 v7, v7, v12
	v_xor_b32_e32 v5, v41, v5
	v_xor_b32_e32 v7, v30, v7
	v_mad_u64_u32 v[10:11], s[0:1], v5, s63, 0
	v_mad_u64_u32 v[8:9], s[0:1], v7, s62, 0
	v_xor_b32_e32 v5, v28, v11
	v_xor_b32_e32 v5, v5, v6
	v_xor_b32_e32 v6, v31, v9
	v_xor_b32_e32 v6, v6, v4
	;; [unrolled: 6-line block ×10, first 2 shown]
	v_mov_b32_e32 v5, v10
	v_mov_b32_e32 v6, v11
	v_cmp_lt_i32_e32 vcc, 1, v18
	s_and_saveexec_b64 s[0:1], vcc
	s_xor_b64 s[0:1], exec, s[0:1]
	s_cbranch_execz .LBB15_15
; %bb.10:                               ;   in Loop: Header=BB15_9 Depth=1
	v_cmp_lt_i32_e32 vcc, 2, v18
	s_and_saveexec_b64 s[2:3], vcc
	s_xor_b64 s[2:3], exec, s[2:3]
; %bb.11:                               ;   in Loop: Header=BB15_9 Depth=1
	v_mov_b32_e32 v8, v3
	v_mov_b32_e32 v9, v4
	v_pk_mov_b32 v[0:1], v[8:9], v[8:9] op_sel:[0,1]
	v_pk_mov_b32 v[2:3], v[10:11], v[10:11] op_sel:[0,1]
                                        ; implicit-def: $vgpr10_vgpr11
; %bb.12:                               ;   in Loop: Header=BB15_9 Depth=1
	s_andn2_saveexec_b64 s[2:3], s[2:3]
; %bb.13:                               ;   in Loop: Header=BB15_9 Depth=1
	v_mov_b32_e32 v0, v2
	v_mov_b32_e32 v1, v3
	;; [unrolled: 1-line block ×4, first 2 shown]
; %bb.14:                               ;   in Loop: Header=BB15_9 Depth=1
	s_or_b64 exec, exec, s[2:3]
.LBB15_15:                              ;   in Loop: Header=BB15_9 Depth=1
	s_andn2_saveexec_b64 s[0:1], s[0:1]
	s_cbranch_execz .LBB15_19
; %bb.16:                               ;   in Loop: Header=BB15_9 Depth=1
	v_cmp_eq_u32_e32 vcc, 1, v18
	s_and_saveexec_b64 s[2:3], vcc
; %bb.17:                               ;   in Loop: Header=BB15_9 Depth=1
	v_mov_b32_e32 v0, v1
	v_mov_b32_e32 v1, v2
	;; [unrolled: 1-line block ×4, first 2 shown]
; %bb.18:                               ;   in Loop: Header=BB15_9 Depth=1
	s_or_b64 exec, exec, s[2:3]
.LBB15_19:                              ;   in Loop: Header=BB15_9 Depth=1
	s_or_b64 exec, exec, s[0:1]
	v_cndmask_b32_e64 v7, 0, 1, s[40:41]
	v_cmp_gt_i64_e32 vcc, s[24:25], v[14:15]
	v_cmp_ne_u32_e64 s[0:1], 1, v7
	s_and_saveexec_b64 s[2:3], vcc
	s_cbranch_execz .LBB15_35
; %bb.20:                               ;   in Loop: Header=BB15_9 Depth=1
	s_and_b64 vcc, exec, s[0:1]
	s_cbranch_vccnz .LBB15_26
; %bb.21:                               ;   in Loop: Header=BB15_9 Depth=1
	s_andn2_b64 vcc, exec, s[42:43]
	s_cbranch_vccnz .LBB15_27
; %bb.22:                               ;   in Loop: Header=BB15_9 Depth=1
	s_mov_b32 s6, 0
	s_andn2_b64 vcc, exec, s[50:51]
	v_mov_b32_e32 v8, 0
	s_cbranch_vccnz .LBB15_28
; %bb.23:                               ;   in Loop: Header=BB15_9 Depth=1
	s_mov_b32 s71, 0
	v_mov_b32_e32 v8, 0
	s_mov_b64 s[56:57], s[34:35]
	s_mov_b64 s[58:59], s[44:45]
	v_mov_b32_e32 v7, v14
.LBB15_24:                              ;   Parent Loop BB15_9 Depth=1
                                        ; =>  This Inner Loop Header: Depth=2
	s_load_dwordx8 s[16:23], s[56:57], 0x4
	s_load_dwordx4 s[4:7], s[56:57], 0x24
	s_load_dwordx4 s[36:39], s[58:59], 0x0
	s_add_u32 s56, s56, 48
	s_addc_u32 s57, s57, 0
	s_waitcnt lgkmcnt(0)
	v_mul_hi_u32 v9, s17, v7
	v_add_u32_e32 v9, v7, v9
	v_lshrrev_b32_e32 v9, s18, v9
	v_mul_lo_u32 v10, v9, s16
	v_mul_hi_u32 v11, s20, v9
	v_sub_u32_e32 v7, v7, v10
	v_add_u32_e32 v10, v9, v11
	v_lshrrev_b32_e32 v10, s21, v10
	v_mul_lo_u32 v11, v10, s19
	v_mul_hi_u32 v17, s23, v10
	v_sub_u32_e32 v9, v9, v11
	v_add_u32_e32 v11, v10, v17
	v_mul_lo_u32 v7, v7, s36
	v_mul_lo_u32 v9, v9, s37
	v_lshrrev_b32_e32 v11, s4, v11
	v_add3_u32 v8, v7, v8, v9
	v_mul_lo_u32 v7, v11, s22
	v_mul_hi_u32 v9, s6, v11
	v_sub_u32_e32 v7, v10, v7
	v_add_u32_e32 v9, v11, v9
	v_mul_lo_u32 v10, v7, s38
	v_lshrrev_b32_e32 v7, s7, v9
	s_add_i32 s71, s71, 4
	v_mul_lo_u32 v9, v7, s5
	s_add_u32 s58, s58, 16
	v_sub_u32_e32 v9, v11, v9
	s_addc_u32 s59, s59, 0
	v_mul_lo_u32 v9, v9, s39
	s_cmp_lg_u32 s69, s71
	v_add3_u32 v8, v10, v8, v9
	s_cbranch_scc1 .LBB15_24
; %bb.25:                               ;   in Loop: Header=BB15_9 Depth=1
	s_mov_b32 s6, s69
	s_andn2_b64 vcc, exec, s[54:55]
	s_cbranch_vccz .LBB15_29
	s_branch .LBB15_31
.LBB15_26:                              ;   in Loop: Header=BB15_9 Depth=1
                                        ; implicit-def: $vgpr8
	s_branch .LBB15_32
.LBB15_27:                              ;   in Loop: Header=BB15_9 Depth=1
	v_mov_b32_e32 v8, 0
	s_branch .LBB15_31
.LBB15_28:                              ;   in Loop: Header=BB15_9 Depth=1
	v_mov_b32_e32 v7, v14
	s_andn2_b64 vcc, exec, s[54:55]
	s_cbranch_vccnz .LBB15_31
.LBB15_29:                              ;   in Loop: Header=BB15_9 Depth=1
	s_lshl_b32 s4, s6, 2
	s_add_u32 s4, s44, s4
	s_addc_u32 s5, s45, 0
	s_mul_i32 s6, s6, 12
	s_add_u32 s6, s34, s6
	s_addc_u32 s7, s35, 0
	s_mov_b32 s16, s68
.LBB15_30:                              ;   Parent Loop BB15_9 Depth=1
                                        ; =>  This Inner Loop Header: Depth=2
	s_load_dwordx2 s[18:19], s[6:7], 0x4
	s_load_dword s17, s[6:7], 0xc
	s_load_dword s20, s[4:5], 0x0
	s_add_u32 s6, s6, 12
	s_addc_u32 s7, s7, 0
	s_waitcnt lgkmcnt(0)
	v_mul_hi_u32 v9, s19, v7
	v_add_u32_e32 v9, v7, v9
	v_lshrrev_b32_e32 v9, s17, v9
	s_add_u32 s4, s4, 4
	v_mul_lo_u32 v10, v9, s18
	s_addc_u32 s5, s5, 0
	s_add_i32 s16, s16, -1
	v_sub_u32_e32 v10, v7, v10
	s_cmp_lg_u32 s16, 0
	v_mov_b32_e32 v7, v9
	v_mad_u64_u32 v[8:9], s[18:19], v10, s20, v[8:9]
	s_cbranch_scc1 .LBB15_30
.LBB15_31:                              ;   in Loop: Header=BB15_9 Depth=1
	s_cbranch_execnz .LBB15_34
.LBB15_32:                              ;   in Loop: Header=BB15_9 Depth=1
	v_mul_hi_u32 v7, v14, s10
	v_add_u32_e32 v7, v7, v14
	v_lshrrev_b32_e32 v7, s11, v7
	v_mul_lo_u32 v8, v7, s9
	v_sub_u32_e32 v8, v14, v8
	s_andn2_b64 vcc, exec, s[48:49]
	v_mul_lo_u32 v8, v8, s46
	s_cbranch_vccnz .LBB15_34
; %bb.33:                               ;   in Loop: Header=BB15_9 Depth=1
	v_mul_hi_u32 v9, s8, v7
	v_add_u32_e32 v9, v7, v9
	v_lshrrev_b32_e32 v9, s14, v9
	v_mul_lo_u32 v9, v9, s12
	v_sub_u32_e32 v7, v7, v9
	v_mad_u64_u32 v[8:9], s[4:5], v7, s47, v[8:9]
.LBB15_34:                              ;   in Loop: Header=BB15_9 Depth=1
	v_cvt_f32_u32_e32 v0, v0
	v_mov_b32_e32 v7, 0x2f800000
	v_mov_b32_e32 v9, s13
	v_fmac_f32_e32 v7, 0x2f800000, v0
	v_fma_f32 v0, s30, v7, v9
	v_bfe_u32 v7, v0, 16, 1
	v_add3_u32 v7, v0, v7, s70
	v_lshrrev_b32_e32 v7, 16, v7
	v_cmp_o_f32_e32 vcc, v0, v0
	v_cndmask_b32_e32 v0, v39, v7, vcc
	v_lshlrev_b32_e32 v7, 16, v0
	v_mov_b32_e32 v9, s31
	v_cmp_eq_f32_e32 vcc, s15, v7
	v_cndmask_b32_e32 v0, v0, v9, vcc
	global_store_short v8, v0, s[28:29]
.LBB15_35:                              ;   in Loop: Header=BB15_9 Depth=1
	s_or_b64 exec, exec, s[2:3]
	v_mov_b32_e32 v0, s61
	v_add_co_u32_e32 v8, vcc, s33, v14
	v_addc_co_u32_e32 v9, vcc, v15, v0, vcc
	v_cmp_gt_i64_e32 vcc, s[24:25], v[8:9]
	s_and_saveexec_b64 s[2:3], vcc
	s_cbranch_execz .LBB15_51
; %bb.36:                               ;   in Loop: Header=BB15_9 Depth=1
	s_and_b64 vcc, exec, s[0:1]
	s_cbranch_vccnz .LBB15_42
; %bb.37:                               ;   in Loop: Header=BB15_9 Depth=1
	s_andn2_b64 vcc, exec, s[42:43]
	s_cbranch_vccnz .LBB15_43
; %bb.38:                               ;   in Loop: Header=BB15_9 Depth=1
	s_mov_b32 s6, 0
	s_andn2_b64 vcc, exec, s[50:51]
	v_mov_b32_e32 v10, 0
	s_cbranch_vccnz .LBB15_44
; %bb.39:                               ;   in Loop: Header=BB15_9 Depth=1
	s_mov_b32 s71, 0
	v_mov_b32_e32 v10, 0
	s_mov_b64 s[56:57], s[34:35]
	s_mov_b64 s[58:59], s[44:45]
	v_mov_b32_e32 v0, v8
.LBB15_40:                              ;   Parent Loop BB15_9 Depth=1
                                        ; =>  This Inner Loop Header: Depth=2
	s_load_dwordx8 s[16:23], s[56:57], 0x4
	s_load_dwordx4 s[4:7], s[56:57], 0x24
	s_load_dwordx4 s[36:39], s[58:59], 0x0
	s_add_u32 s56, s56, 48
	s_addc_u32 s57, s57, 0
	s_waitcnt lgkmcnt(0)
	v_mul_hi_u32 v7, s17, v0
	v_add_u32_e32 v7, v0, v7
	v_lshrrev_b32_e32 v7, s18, v7
	v_mul_lo_u32 v9, v7, s16
	v_mul_hi_u32 v11, s20, v7
	v_sub_u32_e32 v0, v0, v9
	v_add_u32_e32 v9, v7, v11
	v_lshrrev_b32_e32 v9, s21, v9
	v_mul_lo_u32 v11, v9, s19
	v_mul_hi_u32 v17, s23, v9
	v_sub_u32_e32 v7, v7, v11
	v_add_u32_e32 v11, v9, v17
	v_mul_lo_u32 v0, v0, s36
	v_mul_lo_u32 v7, v7, s37
	v_lshrrev_b32_e32 v11, s4, v11
	v_add3_u32 v7, v0, v10, v7
	v_mul_lo_u32 v0, v11, s22
	v_mul_hi_u32 v10, s6, v11
	v_sub_u32_e32 v0, v9, v0
	v_add_u32_e32 v9, v11, v10
	v_mul_lo_u32 v10, v0, s38
	v_lshrrev_b32_e32 v0, s7, v9
	s_add_i32 s71, s71, 4
	v_mul_lo_u32 v9, v0, s5
	s_add_u32 s58, s58, 16
	v_sub_u32_e32 v9, v11, v9
	s_addc_u32 s59, s59, 0
	v_mul_lo_u32 v9, v9, s39
	s_cmp_eq_u32 s69, s71
	v_add3_u32 v10, v10, v7, v9
	s_cbranch_scc0 .LBB15_40
; %bb.41:                               ;   in Loop: Header=BB15_9 Depth=1
	s_mov_b32 s6, s69
	s_andn2_b64 vcc, exec, s[54:55]
	s_cbranch_vccz .LBB15_45
	s_branch .LBB15_47
.LBB15_42:                              ;   in Loop: Header=BB15_9 Depth=1
                                        ; implicit-def: $vgpr10
	s_branch .LBB15_48
.LBB15_43:                              ;   in Loop: Header=BB15_9 Depth=1
	v_mov_b32_e32 v10, 0
	s_branch .LBB15_47
.LBB15_44:                              ;   in Loop: Header=BB15_9 Depth=1
	v_mov_b32_e32 v0, v8
	s_andn2_b64 vcc, exec, s[54:55]
	s_cbranch_vccnz .LBB15_47
.LBB15_45:                              ;   in Loop: Header=BB15_9 Depth=1
	s_lshl_b32 s4, s6, 2
	s_add_u32 s4, s44, s4
	s_addc_u32 s5, s45, 0
	s_mul_i32 s6, s6, 12
	s_add_u32 s6, s34, s6
	s_addc_u32 s7, s35, 0
	s_mov_b32 s16, s68
.LBB15_46:                              ;   Parent Loop BB15_9 Depth=1
                                        ; =>  This Inner Loop Header: Depth=2
	s_load_dwordx2 s[18:19], s[6:7], 0x4
	s_load_dword s17, s[6:7], 0xc
	s_load_dword s20, s[4:5], 0x0
	s_add_u32 s6, s6, 12
	s_addc_u32 s7, s7, 0
	s_waitcnt lgkmcnt(0)
	v_mul_hi_u32 v7, s19, v0
	v_add_u32_e32 v7, v0, v7
	v_lshrrev_b32_e32 v7, s17, v7
	s_add_u32 s4, s4, 4
	v_mul_lo_u32 v9, v7, s18
	s_addc_u32 s5, s5, 0
	s_add_i32 s16, s16, -1
	v_sub_u32_e32 v9, v0, v9
	s_cmp_lg_u32 s16, 0
	v_mov_b32_e32 v0, v7
	v_mad_u64_u32 v[10:11], s[18:19], v9, s20, v[10:11]
	s_cbranch_scc1 .LBB15_46
.LBB15_47:                              ;   in Loop: Header=BB15_9 Depth=1
	s_cbranch_execnz .LBB15_50
.LBB15_48:                              ;   in Loop: Header=BB15_9 Depth=1
	v_mul_hi_u32 v0, v8, s10
	v_add_u32_e32 v0, v0, v8
	v_lshrrev_b32_e32 v0, s11, v0
	v_mul_lo_u32 v7, v0, s9
	v_sub_u32_e32 v7, v8, v7
	s_andn2_b64 vcc, exec, s[48:49]
	v_mul_lo_u32 v10, v7, s46
	s_cbranch_vccnz .LBB15_50
; %bb.49:                               ;   in Loop: Header=BB15_9 Depth=1
	v_mul_hi_u32 v7, s8, v0
	v_add_u32_e32 v7, v0, v7
	v_lshrrev_b32_e32 v7, s14, v7
	v_mul_lo_u32 v7, v7, s12
	v_sub_u32_e32 v0, v0, v7
	v_mad_u64_u32 v[10:11], s[4:5], v0, s47, v[10:11]
.LBB15_50:                              ;   in Loop: Header=BB15_9 Depth=1
	v_cvt_f32_u32_e32 v0, v1
	v_mov_b32_e32 v1, 0x2f800000
	v_mov_b32_e32 v7, s13
	v_fmac_f32_e32 v1, 0x2f800000, v0
	v_fma_f32 v0, s30, v1, v7
	v_bfe_u32 v1, v0, 16, 1
	v_add3_u32 v1, v0, v1, s70
	v_lshrrev_b32_e32 v1, 16, v1
	v_cmp_o_f32_e32 vcc, v0, v0
	v_cndmask_b32_e32 v0, v39, v1, vcc
	v_lshlrev_b32_e32 v1, 16, v0
	v_mov_b32_e32 v7, s31
	v_cmp_eq_f32_e32 vcc, s15, v1
	v_cndmask_b32_e32 v0, v0, v7, vcc
	global_store_short v10, v0, s[28:29]
.LBB15_51:                              ;   in Loop: Header=BB15_9 Depth=1
	s_or_b64 exec, exec, s[2:3]
	v_mov_b32_e32 v1, s65
	v_add_co_u32_e32 v0, vcc, s64, v14
	v_addc_co_u32_e32 v1, vcc, v15, v1, vcc
	v_cmp_gt_i64_e32 vcc, s[24:25], v[0:1]
	s_and_saveexec_b64 s[2:3], vcc
	s_cbranch_execz .LBB15_67
; %bb.52:                               ;   in Loop: Header=BB15_9 Depth=1
	s_and_b64 vcc, exec, s[0:1]
	s_cbranch_vccnz .LBB15_58
; %bb.53:                               ;   in Loop: Header=BB15_9 Depth=1
	s_andn2_b64 vcc, exec, s[42:43]
	s_cbranch_vccnz .LBB15_59
; %bb.54:                               ;   in Loop: Header=BB15_9 Depth=1
	s_mov_b32 s6, 0
	s_andn2_b64 vcc, exec, s[50:51]
	v_mov_b32_e32 v8, 0
	s_cbranch_vccnz .LBB15_60
; %bb.55:                               ;   in Loop: Header=BB15_9 Depth=1
	s_mov_b32 s71, 0
	v_mov_b32_e32 v8, 0
	s_mov_b64 s[56:57], s[34:35]
	s_mov_b64 s[58:59], s[44:45]
	v_mov_b32_e32 v1, v0
.LBB15_56:                              ;   Parent Loop BB15_9 Depth=1
                                        ; =>  This Inner Loop Header: Depth=2
	s_load_dwordx8 s[16:23], s[56:57], 0x4
	s_load_dwordx4 s[4:7], s[56:57], 0x24
	s_load_dwordx4 s[36:39], s[58:59], 0x0
	s_add_u32 s56, s56, 48
	s_addc_u32 s57, s57, 0
	s_waitcnt lgkmcnt(0)
	v_mul_hi_u32 v7, s17, v1
	v_add_u32_e32 v7, v1, v7
	v_lshrrev_b32_e32 v7, s18, v7
	v_mul_lo_u32 v9, v7, s16
	v_mul_hi_u32 v10, s20, v7
	v_sub_u32_e32 v1, v1, v9
	v_add_u32_e32 v9, v7, v10
	v_lshrrev_b32_e32 v9, s21, v9
	v_mul_lo_u32 v10, v9, s19
	v_mul_hi_u32 v11, s23, v9
	v_sub_u32_e32 v7, v7, v10
	v_add_u32_e32 v10, v9, v11
	v_mul_lo_u32 v1, v1, s36
	v_mul_lo_u32 v7, v7, s37
	v_lshrrev_b32_e32 v10, s4, v10
	v_add3_u32 v7, v1, v8, v7
	v_mul_lo_u32 v1, v10, s22
	v_mul_hi_u32 v8, s6, v10
	v_sub_u32_e32 v1, v9, v1
	v_add_u32_e32 v8, v10, v8
	v_mul_lo_u32 v9, v1, s38
	v_lshrrev_b32_e32 v1, s7, v8
	s_add_i32 s71, s71, 4
	v_mul_lo_u32 v8, v1, s5
	s_add_u32 s58, s58, 16
	v_sub_u32_e32 v8, v10, v8
	s_addc_u32 s59, s59, 0
	v_mul_lo_u32 v8, v8, s39
	s_cmp_eq_u32 s69, s71
	v_add3_u32 v8, v9, v7, v8
	s_cbranch_scc0 .LBB15_56
; %bb.57:                               ;   in Loop: Header=BB15_9 Depth=1
	s_mov_b32 s6, s69
	s_andn2_b64 vcc, exec, s[54:55]
	s_cbranch_vccz .LBB15_61
	s_branch .LBB15_63
.LBB15_58:                              ;   in Loop: Header=BB15_9 Depth=1
                                        ; implicit-def: $vgpr8
	s_branch .LBB15_64
.LBB15_59:                              ;   in Loop: Header=BB15_9 Depth=1
	v_mov_b32_e32 v8, 0
	s_branch .LBB15_63
.LBB15_60:                              ;   in Loop: Header=BB15_9 Depth=1
	v_mov_b32_e32 v1, v0
	s_andn2_b64 vcc, exec, s[54:55]
	s_cbranch_vccnz .LBB15_63
.LBB15_61:                              ;   in Loop: Header=BB15_9 Depth=1
	s_lshl_b32 s4, s6, 2
	s_add_u32 s4, s44, s4
	s_addc_u32 s5, s45, 0
	s_mul_i32 s6, s6, 12
	s_add_u32 s6, s34, s6
	s_addc_u32 s7, s35, 0
	s_mov_b32 s16, s68
.LBB15_62:                              ;   Parent Loop BB15_9 Depth=1
                                        ; =>  This Inner Loop Header: Depth=2
	s_load_dwordx2 s[18:19], s[6:7], 0x4
	s_load_dword s17, s[6:7], 0xc
	s_load_dword s20, s[4:5], 0x0
	s_add_u32 s6, s6, 12
	s_addc_u32 s7, s7, 0
	s_waitcnt lgkmcnt(0)
	v_mul_hi_u32 v7, s19, v1
	v_add_u32_e32 v7, v1, v7
	v_lshrrev_b32_e32 v7, s17, v7
	s_add_u32 s4, s4, 4
	v_mul_lo_u32 v9, v7, s18
	s_addc_u32 s5, s5, 0
	s_add_i32 s16, s16, -1
	v_sub_u32_e32 v9, v1, v9
	s_cmp_lg_u32 s16, 0
	v_mov_b32_e32 v1, v7
	v_mad_u64_u32 v[8:9], s[18:19], v9, s20, v[8:9]
	s_cbranch_scc1 .LBB15_62
.LBB15_63:                              ;   in Loop: Header=BB15_9 Depth=1
	s_cbranch_execnz .LBB15_66
.LBB15_64:                              ;   in Loop: Header=BB15_9 Depth=1
	v_mul_hi_u32 v1, v0, s10
	v_add_u32_e32 v1, v1, v0
	v_lshrrev_b32_e32 v1, s11, v1
	v_mul_lo_u32 v7, v1, s9
	v_sub_u32_e32 v0, v0, v7
	s_andn2_b64 vcc, exec, s[48:49]
	v_mul_lo_u32 v8, v0, s46
	s_cbranch_vccnz .LBB15_66
; %bb.65:                               ;   in Loop: Header=BB15_9 Depth=1
	v_mul_hi_u32 v0, s8, v1
	v_add_u32_e32 v0, v1, v0
	v_lshrrev_b32_e32 v0, s14, v0
	v_mul_lo_u32 v0, v0, s12
	v_sub_u32_e32 v0, v1, v0
	v_mad_u64_u32 v[8:9], s[4:5], v0, s47, v[8:9]
.LBB15_66:                              ;   in Loop: Header=BB15_9 Depth=1
	v_cvt_f32_u32_e32 v0, v2
	v_mov_b32_e32 v1, 0x2f800000
	v_mov_b32_e32 v2, s13
	v_fmac_f32_e32 v1, 0x2f800000, v0
	v_fma_f32 v0, s30, v1, v2
	v_bfe_u32 v1, v0, 16, 1
	v_add3_u32 v1, v0, v1, s70
	v_lshrrev_b32_e32 v1, 16, v1
	v_cmp_o_f32_e32 vcc, v0, v0
	v_cndmask_b32_e32 v0, v39, v1, vcc
	v_lshlrev_b32_e32 v1, 16, v0
	v_mov_b32_e32 v2, s31
	v_cmp_eq_f32_e32 vcc, s15, v1
	v_cndmask_b32_e32 v0, v0, v2, vcc
	global_store_short v8, v0, s[28:29]
.LBB15_67:                              ;   in Loop: Header=BB15_9 Depth=1
	s_or_b64 exec, exec, s[2:3]
	v_mov_b32_e32 v1, s67
	v_add_co_u32_e32 v0, vcc, s66, v14
	v_addc_co_u32_e32 v1, vcc, v15, v1, vcc
	v_cmp_gt_i64_e32 vcc, s[24:25], v[0:1]
	s_and_saveexec_b64 s[36:37], vcc
	s_cbranch_execz .LBB15_8
; %bb.68:                               ;   in Loop: Header=BB15_9 Depth=1
	s_and_b64 vcc, exec, s[0:1]
	s_cbranch_vccnz .LBB15_74
; %bb.69:                               ;   in Loop: Header=BB15_9 Depth=1
	s_andn2_b64 vcc, exec, s[42:43]
	s_cbranch_vccnz .LBB15_75
; %bb.70:                               ;   in Loop: Header=BB15_9 Depth=1
	s_mov_b32 s2, 0
	s_andn2_b64 vcc, exec, s[50:51]
	v_mov_b32_e32 v8, 0
	s_cbranch_vccnz .LBB15_76
; %bb.71:                               ;   in Loop: Header=BB15_9 Depth=1
	s_mov_b32 s58, 0
	v_mov_b32_e32 v8, 0
	s_mov_b64 s[38:39], s[34:35]
	s_mov_b64 s[56:57], s[44:45]
	v_mov_b32_e32 v1, v0
.LBB15_72:                              ;   Parent Loop BB15_9 Depth=1
                                        ; =>  This Inner Loop Header: Depth=2
	s_load_dwordx8 s[0:7], s[38:39], 0x4
	s_load_dwordx4 s[16:19], s[38:39], 0x24
	s_load_dwordx4 s[20:23], s[56:57], 0x0
	s_add_u32 s38, s38, 48
	s_addc_u32 s39, s39, 0
	s_waitcnt lgkmcnt(0)
	v_mul_hi_u32 v2, s1, v1
	v_add_u32_e32 v2, v1, v2
	v_lshrrev_b32_e32 v2, s2, v2
	v_mul_lo_u32 v7, v2, s0
	v_mul_hi_u32 v9, s4, v2
	v_sub_u32_e32 v1, v1, v7
	v_add_u32_e32 v7, v2, v9
	v_lshrrev_b32_e32 v7, s5, v7
	v_mul_lo_u32 v9, v7, s3
	v_mul_hi_u32 v10, s7, v7
	v_sub_u32_e32 v2, v2, v9
	v_add_u32_e32 v9, v7, v10
	v_mul_lo_u32 v1, v1, s20
	v_mul_lo_u32 v2, v2, s21
	v_lshrrev_b32_e32 v9, s16, v9
	v_add3_u32 v2, v1, v8, v2
	v_mul_lo_u32 v1, v9, s6
	v_mul_hi_u32 v8, s18, v9
	v_sub_u32_e32 v1, v7, v1
	v_add_u32_e32 v7, v9, v8
	v_mul_lo_u32 v8, v1, s22
	v_lshrrev_b32_e32 v1, s19, v7
	s_add_i32 s58, s58, 4
	v_mul_lo_u32 v7, v1, s17
	s_add_u32 s56, s56, 16
	v_sub_u32_e32 v7, v9, v7
	s_addc_u32 s57, s57, 0
	v_mul_lo_u32 v7, v7, s23
	s_cmp_eq_u32 s69, s58
	v_add3_u32 v8, v8, v2, v7
	s_cbranch_scc0 .LBB15_72
; %bb.73:                               ;   in Loop: Header=BB15_9 Depth=1
	s_mov_b32 s2, s69
	s_andn2_b64 vcc, exec, s[54:55]
	s_cbranch_vccz .LBB15_77
	s_branch .LBB15_79
.LBB15_74:                              ;   in Loop: Header=BB15_9 Depth=1
                                        ; implicit-def: $vgpr8
	s_branch .LBB15_80
.LBB15_75:                              ;   in Loop: Header=BB15_9 Depth=1
	v_mov_b32_e32 v8, 0
	s_branch .LBB15_79
.LBB15_76:                              ;   in Loop: Header=BB15_9 Depth=1
	v_mov_b32_e32 v1, v0
	s_andn2_b64 vcc, exec, s[54:55]
	s_cbranch_vccnz .LBB15_79
.LBB15_77:                              ;   in Loop: Header=BB15_9 Depth=1
	s_lshl_b32 s0, s2, 2
	s_add_u32 s0, s44, s0
	s_addc_u32 s1, s45, 0
	s_mul_i32 s2, s2, 12
	s_add_u32 s2, s34, s2
	s_addc_u32 s3, s35, 0
	s_mov_b32 s4, s68
.LBB15_78:                              ;   Parent Loop BB15_9 Depth=1
                                        ; =>  This Inner Loop Header: Depth=2
	s_load_dwordx2 s[6:7], s[2:3], 0x4
	s_load_dword s5, s[2:3], 0xc
	s_load_dword s16, s[0:1], 0x0
	s_add_u32 s2, s2, 12
	s_addc_u32 s3, s3, 0
	s_waitcnt lgkmcnt(0)
	v_mul_hi_u32 v2, s7, v1
	v_add_u32_e32 v2, v1, v2
	v_lshrrev_b32_e32 v2, s5, v2
	s_add_u32 s0, s0, 4
	v_mul_lo_u32 v7, v2, s6
	s_addc_u32 s1, s1, 0
	s_add_i32 s4, s4, -1
	v_sub_u32_e32 v7, v1, v7
	s_cmp_lg_u32 s4, 0
	v_mov_b32_e32 v1, v2
	v_mad_u64_u32 v[8:9], s[6:7], v7, s16, v[8:9]
	s_cbranch_scc1 .LBB15_78
.LBB15_79:                              ;   in Loop: Header=BB15_9 Depth=1
	s_cbranch_execnz .LBB15_7
.LBB15_80:                              ;   in Loop: Header=BB15_9 Depth=1
	v_mul_hi_u32 v1, v0, s10
	v_add_u32_e32 v1, v1, v0
	v_lshrrev_b32_e32 v1, s11, v1
	v_mul_lo_u32 v2, v1, s9
	v_sub_u32_e32 v0, v0, v2
	s_andn2_b64 vcc, exec, s[48:49]
	v_mul_lo_u32 v8, v0, s46
	s_cbranch_vccnz .LBB15_7
; %bb.81:                               ;   in Loop: Header=BB15_9 Depth=1
	v_mul_hi_u32 v0, s8, v1
	v_add_u32_e32 v0, v1, v0
	v_lshrrev_b32_e32 v0, s14, v0
	v_mul_lo_u32 v0, v0, s12
	v_sub_u32_e32 v0, v1, v0
	v_mad_u64_u32 v[8:9], s[0:1], v0, s47, v[8:9]
	s_branch .LBB15_7
.LBB15_82:
	s_endpgm
.LBB15_83:
                                        ; implicit-def: $sgpr2_sgpr3
	s_andn2_b64 vcc, exec, s[0:1]
	s_cbranch_vccz .LBB15_4
	s_branch .LBB15_5
	.section	.rodata,"a",@progbits
	.p2align	6, 0x0
	.amdhsa_kernel _ZN2at6native12_GLOBAL__N_143distribution_elementwise_grid_stride_kernelIfLi4EZNS0_9templates4cuda21uniform_and_transformIN3c108BFloat16EfPNS_17CUDAGeneratorImplEZZZNS4_14uniform_kernelIS9_EEvRNS_18TensorIteratorBaseEddT_ENKUlvE_clEvENKUlvE2_clEvEUlfE_EEvSC_T1_T2_EUlP25hiprandStatePhilox4_32_10E0_ZNS1_27distribution_nullary_kernelIS7_f15HIP_vector_typeIfLj4EES9_SL_SG_EEvSC_SI_RKT3_T4_EUlifE0_EEvlNS_15PhiloxCudaStateESH_SI_
		.amdhsa_group_segment_fixed_size 0
		.amdhsa_private_segment_fixed_size 0
		.amdhsa_kernarg_size 584
		.amdhsa_user_sgpr_count 6
		.amdhsa_user_sgpr_private_segment_buffer 1
		.amdhsa_user_sgpr_dispatch_ptr 0
		.amdhsa_user_sgpr_queue_ptr 0
		.amdhsa_user_sgpr_kernarg_segment_ptr 1
		.amdhsa_user_sgpr_dispatch_id 0
		.amdhsa_user_sgpr_flat_scratch_init 0
		.amdhsa_user_sgpr_kernarg_preload_length 0
		.amdhsa_user_sgpr_kernarg_preload_offset 0
		.amdhsa_user_sgpr_private_segment_size 0
		.amdhsa_uses_dynamic_stack 0
		.amdhsa_system_sgpr_private_segment_wavefront_offset 0
		.amdhsa_system_sgpr_workgroup_id_x 1
		.amdhsa_system_sgpr_workgroup_id_y 0
		.amdhsa_system_sgpr_workgroup_id_z 0
		.amdhsa_system_sgpr_workgroup_info 0
		.amdhsa_system_vgpr_workitem_id 0
		.amdhsa_next_free_vgpr 42
		.amdhsa_next_free_sgpr 72
		.amdhsa_accum_offset 44
		.amdhsa_reserve_vcc 1
		.amdhsa_reserve_flat_scratch 0
		.amdhsa_float_round_mode_32 0
		.amdhsa_float_round_mode_16_64 0
		.amdhsa_float_denorm_mode_32 3
		.amdhsa_float_denorm_mode_16_64 3
		.amdhsa_dx10_clamp 1
		.amdhsa_ieee_mode 1
		.amdhsa_fp16_overflow 0
		.amdhsa_tg_split 0
		.amdhsa_exception_fp_ieee_invalid_op 0
		.amdhsa_exception_fp_denorm_src 0
		.amdhsa_exception_fp_ieee_div_zero 0
		.amdhsa_exception_fp_ieee_overflow 0
		.amdhsa_exception_fp_ieee_underflow 0
		.amdhsa_exception_fp_ieee_inexact 0
		.amdhsa_exception_int_div_zero 0
	.end_amdhsa_kernel
	.section	.text._ZN2at6native12_GLOBAL__N_143distribution_elementwise_grid_stride_kernelIfLi4EZNS0_9templates4cuda21uniform_and_transformIN3c108BFloat16EfPNS_17CUDAGeneratorImplEZZZNS4_14uniform_kernelIS9_EEvRNS_18TensorIteratorBaseEddT_ENKUlvE_clEvENKUlvE2_clEvEUlfE_EEvSC_T1_T2_EUlP25hiprandStatePhilox4_32_10E0_ZNS1_27distribution_nullary_kernelIS7_f15HIP_vector_typeIfLj4EES9_SL_SG_EEvSC_SI_RKT3_T4_EUlifE0_EEvlNS_15PhiloxCudaStateESH_SI_,"axG",@progbits,_ZN2at6native12_GLOBAL__N_143distribution_elementwise_grid_stride_kernelIfLi4EZNS0_9templates4cuda21uniform_and_transformIN3c108BFloat16EfPNS_17CUDAGeneratorImplEZZZNS4_14uniform_kernelIS9_EEvRNS_18TensorIteratorBaseEddT_ENKUlvE_clEvENKUlvE2_clEvEUlfE_EEvSC_T1_T2_EUlP25hiprandStatePhilox4_32_10E0_ZNS1_27distribution_nullary_kernelIS7_f15HIP_vector_typeIfLj4EES9_SL_SG_EEvSC_SI_RKT3_T4_EUlifE0_EEvlNS_15PhiloxCudaStateESH_SI_,comdat
.Lfunc_end15:
	.size	_ZN2at6native12_GLOBAL__N_143distribution_elementwise_grid_stride_kernelIfLi4EZNS0_9templates4cuda21uniform_and_transformIN3c108BFloat16EfPNS_17CUDAGeneratorImplEZZZNS4_14uniform_kernelIS9_EEvRNS_18TensorIteratorBaseEddT_ENKUlvE_clEvENKUlvE2_clEvEUlfE_EEvSC_T1_T2_EUlP25hiprandStatePhilox4_32_10E0_ZNS1_27distribution_nullary_kernelIS7_f15HIP_vector_typeIfLj4EES9_SL_SG_EEvSC_SI_RKT3_T4_EUlifE0_EEvlNS_15PhiloxCudaStateESH_SI_, .Lfunc_end15-_ZN2at6native12_GLOBAL__N_143distribution_elementwise_grid_stride_kernelIfLi4EZNS0_9templates4cuda21uniform_and_transformIN3c108BFloat16EfPNS_17CUDAGeneratorImplEZZZNS4_14uniform_kernelIS9_EEvRNS_18TensorIteratorBaseEddT_ENKUlvE_clEvENKUlvE2_clEvEUlfE_EEvSC_T1_T2_EUlP25hiprandStatePhilox4_32_10E0_ZNS1_27distribution_nullary_kernelIS7_f15HIP_vector_typeIfLj4EES9_SL_SG_EEvSC_SI_RKT3_T4_EUlifE0_EEvlNS_15PhiloxCudaStateESH_SI_
                                        ; -- End function
	.section	.AMDGPU.csdata,"",@progbits
; Kernel info:
; codeLenInByte = 4624
; NumSgprs: 76
; NumVgprs: 42
; NumAgprs: 0
; TotalNumVgprs: 42
; ScratchSize: 0
; MemoryBound: 0
; FloatMode: 240
; IeeeMode: 1
; LDSByteSize: 0 bytes/workgroup (compile time only)
; SGPRBlocks: 9
; VGPRBlocks: 5
; NumSGPRsForWavesPerEU: 76
; NumVGPRsForWavesPerEU: 42
; AccumOffset: 44
; Occupancy: 8
; WaveLimiterHint : 1
; COMPUTE_PGM_RSRC2:SCRATCH_EN: 0
; COMPUTE_PGM_RSRC2:USER_SGPR: 6
; COMPUTE_PGM_RSRC2:TRAP_HANDLER: 0
; COMPUTE_PGM_RSRC2:TGID_X_EN: 1
; COMPUTE_PGM_RSRC2:TGID_Y_EN: 0
; COMPUTE_PGM_RSRC2:TGID_Z_EN: 0
; COMPUTE_PGM_RSRC2:TIDIG_COMP_CNT: 0
; COMPUTE_PGM_RSRC3_GFX90A:ACCUM_OFFSET: 10
; COMPUTE_PGM_RSRC3_GFX90A:TG_SPLIT: 0
	.text
	.p2alignl 6, 3212836864
	.fill 256, 4, 3212836864
	.type	__hip_cuid_aebed78dff58b516,@object ; @__hip_cuid_aebed78dff58b516
	.section	.bss,"aw",@nobits
	.globl	__hip_cuid_aebed78dff58b516
__hip_cuid_aebed78dff58b516:
	.byte	0                               ; 0x0
	.size	__hip_cuid_aebed78dff58b516, 1

	.ident	"AMD clang version 19.0.0git (https://github.com/RadeonOpenCompute/llvm-project roc-6.4.0 25133 c7fe45cf4b819c5991fe208aaa96edf142730f1d)"
	.section	".note.GNU-stack","",@progbits
	.addrsig
	.addrsig_sym __hip_cuid_aebed78dff58b516
	.amdgpu_metadata
---
amdhsa.kernels:
  - .agpr_count:     0
    .args:
      - .offset:         0
        .size:           8
        .value_kind:     by_value
      - .offset:         8
        .size:           32
        .value_kind:     by_value
      - .offset:         40
        .size:           1
        .value_kind:     by_value
      - .offset:         48
        .size:           40
        .value_kind:     by_value
      - .offset:         88
        .size:           4
        .value_kind:     hidden_block_count_x
      - .offset:         92
        .size:           4
        .value_kind:     hidden_block_count_y
      - .offset:         96
        .size:           4
        .value_kind:     hidden_block_count_z
      - .offset:         100
        .size:           2
        .value_kind:     hidden_group_size_x
      - .offset:         102
        .size:           2
        .value_kind:     hidden_group_size_y
      - .offset:         104
        .size:           2
        .value_kind:     hidden_group_size_z
      - .offset:         106
        .size:           2
        .value_kind:     hidden_remainder_x
      - .offset:         108
        .size:           2
        .value_kind:     hidden_remainder_y
      - .offset:         110
        .size:           2
        .value_kind:     hidden_remainder_z
      - .offset:         128
        .size:           8
        .value_kind:     hidden_global_offset_x
      - .offset:         136
        .size:           8
        .value_kind:     hidden_global_offset_y
      - .offset:         144
        .size:           8
        .value_kind:     hidden_global_offset_z
      - .offset:         152
        .size:           2
        .value_kind:     hidden_grid_dims
    .group_segment_fixed_size: 0
    .kernarg_segment_align: 8
    .kernarg_segment_size: 344
    .language:       OpenCL C
    .language_version:
      - 2
      - 0
    .max_flat_workgroup_size: 256
    .name:           _ZN2at6native12_GLOBAL__N_143distribution_elementwise_grid_stride_kernelIdLi2EZNS0_9templates4cuda21uniform_and_transformIddPNS_17CUDAGeneratorImplEZZZNS4_14uniform_kernelIS7_EEvRNS_18TensorIteratorBaseEddT_ENKUlvE_clEvENKUlvE_clEvEUldE_EEvSA_T1_T2_EUlP25hiprandStatePhilox4_32_10E_ZNS1_27distribution_nullary_kernelIdd15HIP_vector_typeIdLj2EES7_SJ_SE_EEvSA_SG_RKT3_T4_EUlidE_EEvlNS_15PhiloxCudaStateESF_SG_
    .private_segment_fixed_size: 0
    .sgpr_count:     29
    .sgpr_spill_count: 0
    .symbol:         _ZN2at6native12_GLOBAL__N_143distribution_elementwise_grid_stride_kernelIdLi2EZNS0_9templates4cuda21uniform_and_transformIddPNS_17CUDAGeneratorImplEZZZNS4_14uniform_kernelIS7_EEvRNS_18TensorIteratorBaseEddT_ENKUlvE_clEvENKUlvE_clEvEUldE_EEvSA_T1_T2_EUlP25hiprandStatePhilox4_32_10E_ZNS1_27distribution_nullary_kernelIdd15HIP_vector_typeIdLj2EES7_SJ_SE_EEvSA_SG_RKT3_T4_EUlidE_EEvlNS_15PhiloxCudaStateESF_SG_.kd
    .uniform_work_group_size: 1
    .uses_dynamic_stack: false
    .vgpr_count:     46
    .vgpr_spill_count: 0
    .wavefront_size: 64
  - .agpr_count:     0
    .args:
      - .offset:         0
        .size:           8
        .value_kind:     by_value
      - .offset:         8
        .size:           32
        .value_kind:     by_value
      - .offset:         40
        .size:           1
        .value_kind:     by_value
      - .offset:         48
        .size:           296
        .value_kind:     by_value
      - .offset:         344
        .size:           4
        .value_kind:     hidden_block_count_x
      - .offset:         348
        .size:           4
        .value_kind:     hidden_block_count_y
      - .offset:         352
        .size:           4
        .value_kind:     hidden_block_count_z
      - .offset:         356
        .size:           2
        .value_kind:     hidden_group_size_x
      - .offset:         358
        .size:           2
        .value_kind:     hidden_group_size_y
      - .offset:         360
        .size:           2
        .value_kind:     hidden_group_size_z
      - .offset:         362
        .size:           2
        .value_kind:     hidden_remainder_x
      - .offset:         364
        .size:           2
        .value_kind:     hidden_remainder_y
      - .offset:         366
        .size:           2
        .value_kind:     hidden_remainder_z
      - .offset:         384
        .size:           8
        .value_kind:     hidden_global_offset_x
      - .offset:         392
        .size:           8
        .value_kind:     hidden_global_offset_y
      - .offset:         400
        .size:           8
        .value_kind:     hidden_global_offset_z
      - .offset:         408
        .size:           2
        .value_kind:     hidden_grid_dims
    .group_segment_fixed_size: 0
    .kernarg_segment_align: 8
    .kernarg_segment_size: 600
    .language:       OpenCL C
    .language_version:
      - 2
      - 0
    .max_flat_workgroup_size: 256
    .name:           _ZN2at6native12_GLOBAL__N_143distribution_elementwise_grid_stride_kernelIdLi2EZNS0_9templates4cuda21uniform_and_transformIddPNS_17CUDAGeneratorImplEZZZNS4_14uniform_kernelIS7_EEvRNS_18TensorIteratorBaseEddT_ENKUlvE_clEvENKUlvE_clEvEUldE_EEvSA_T1_T2_EUlP25hiprandStatePhilox4_32_10E_ZNS1_27distribution_nullary_kernelIdd15HIP_vector_typeIdLj2EES7_SJ_SE_EEvSA_SG_RKT3_T4_EUlidE0_EEvlNS_15PhiloxCudaStateESF_SG_
    .private_segment_fixed_size: 0
    .sgpr_count:     73
    .sgpr_spill_count: 0
    .symbol:         _ZN2at6native12_GLOBAL__N_143distribution_elementwise_grid_stride_kernelIdLi2EZNS0_9templates4cuda21uniform_and_transformIddPNS_17CUDAGeneratorImplEZZZNS4_14uniform_kernelIS7_EEvRNS_18TensorIteratorBaseEddT_ENKUlvE_clEvENKUlvE_clEvEUldE_EEvSA_T1_T2_EUlP25hiprandStatePhilox4_32_10E_ZNS1_27distribution_nullary_kernelIdd15HIP_vector_typeIdLj2EES7_SJ_SE_EEvSA_SG_RKT3_T4_EUlidE0_EEvlNS_15PhiloxCudaStateESF_SG_.kd
    .uniform_work_group_size: 1
    .uses_dynamic_stack: false
    .vgpr_count:     41
    .vgpr_spill_count: 0
    .wavefront_size: 64
  - .agpr_count:     0
    .args:
      - .offset:         0
        .size:           8
        .value_kind:     by_value
      - .offset:         8
        .size:           32
        .value_kind:     by_value
      - .offset:         40
        .size:           1
        .value_kind:     by_value
      - .offset:         48
        .size:           40
        .value_kind:     by_value
      - .offset:         88
        .size:           4
        .value_kind:     hidden_block_count_x
      - .offset:         92
        .size:           4
        .value_kind:     hidden_block_count_y
      - .offset:         96
        .size:           4
        .value_kind:     hidden_block_count_z
      - .offset:         100
        .size:           2
        .value_kind:     hidden_group_size_x
      - .offset:         102
        .size:           2
        .value_kind:     hidden_group_size_y
      - .offset:         104
        .size:           2
        .value_kind:     hidden_group_size_z
      - .offset:         106
        .size:           2
        .value_kind:     hidden_remainder_x
      - .offset:         108
        .size:           2
        .value_kind:     hidden_remainder_y
      - .offset:         110
        .size:           2
        .value_kind:     hidden_remainder_z
      - .offset:         128
        .size:           8
        .value_kind:     hidden_global_offset_x
      - .offset:         136
        .size:           8
        .value_kind:     hidden_global_offset_y
      - .offset:         144
        .size:           8
        .value_kind:     hidden_global_offset_z
      - .offset:         152
        .size:           2
        .value_kind:     hidden_grid_dims
    .group_segment_fixed_size: 0
    .kernarg_segment_align: 8
    .kernarg_segment_size: 344
    .language:       OpenCL C
    .language_version:
      - 2
      - 0
    .max_flat_workgroup_size: 256
    .name:           _ZN2at6native12_GLOBAL__N_143distribution_elementwise_grid_stride_kernelIdLi2EZNS0_9templates4cuda21uniform_and_transformIddPNS_17CUDAGeneratorImplEZZZNS4_14uniform_kernelIS7_EEvRNS_18TensorIteratorBaseEddT_ENKUlvE_clEvENKUlvE_clEvEUldE_EEvSA_T1_T2_EUlP25hiprandStatePhilox4_32_10E0_ZNS1_27distribution_nullary_kernelIdd15HIP_vector_typeIfLj4EES7_SJ_SE_EEvSA_SG_RKT3_T4_EUlidE_EEvlNS_15PhiloxCudaStateESF_SG_
    .private_segment_fixed_size: 0
    .sgpr_count:     29
    .sgpr_spill_count: 0
    .symbol:         _ZN2at6native12_GLOBAL__N_143distribution_elementwise_grid_stride_kernelIdLi2EZNS0_9templates4cuda21uniform_and_transformIddPNS_17CUDAGeneratorImplEZZZNS4_14uniform_kernelIS7_EEvRNS_18TensorIteratorBaseEddT_ENKUlvE_clEvENKUlvE_clEvEUldE_EEvSA_T1_T2_EUlP25hiprandStatePhilox4_32_10E0_ZNS1_27distribution_nullary_kernelIdd15HIP_vector_typeIfLj4EES7_SJ_SE_EEvSA_SG_RKT3_T4_EUlidE_EEvlNS_15PhiloxCudaStateESF_SG_.kd
    .uniform_work_group_size: 1
    .uses_dynamic_stack: false
    .vgpr_count:     44
    .vgpr_spill_count: 0
    .wavefront_size: 64
  - .agpr_count:     0
    .args:
      - .offset:         0
        .size:           8
        .value_kind:     by_value
      - .offset:         8
        .size:           32
        .value_kind:     by_value
      - .offset:         40
        .size:           1
        .value_kind:     by_value
      - .offset:         48
        .size:           296
        .value_kind:     by_value
      - .offset:         344
        .size:           4
        .value_kind:     hidden_block_count_x
      - .offset:         348
        .size:           4
        .value_kind:     hidden_block_count_y
      - .offset:         352
        .size:           4
        .value_kind:     hidden_block_count_z
      - .offset:         356
        .size:           2
        .value_kind:     hidden_group_size_x
      - .offset:         358
        .size:           2
        .value_kind:     hidden_group_size_y
      - .offset:         360
        .size:           2
        .value_kind:     hidden_group_size_z
      - .offset:         362
        .size:           2
        .value_kind:     hidden_remainder_x
      - .offset:         364
        .size:           2
        .value_kind:     hidden_remainder_y
      - .offset:         366
        .size:           2
        .value_kind:     hidden_remainder_z
      - .offset:         384
        .size:           8
        .value_kind:     hidden_global_offset_x
      - .offset:         392
        .size:           8
        .value_kind:     hidden_global_offset_y
      - .offset:         400
        .size:           8
        .value_kind:     hidden_global_offset_z
      - .offset:         408
        .size:           2
        .value_kind:     hidden_grid_dims
    .group_segment_fixed_size: 0
    .kernarg_segment_align: 8
    .kernarg_segment_size: 600
    .language:       OpenCL C
    .language_version:
      - 2
      - 0
    .max_flat_workgroup_size: 256
    .name:           _ZN2at6native12_GLOBAL__N_143distribution_elementwise_grid_stride_kernelIdLi2EZNS0_9templates4cuda21uniform_and_transformIddPNS_17CUDAGeneratorImplEZZZNS4_14uniform_kernelIS7_EEvRNS_18TensorIteratorBaseEddT_ENKUlvE_clEvENKUlvE_clEvEUldE_EEvSA_T1_T2_EUlP25hiprandStatePhilox4_32_10E0_ZNS1_27distribution_nullary_kernelIdd15HIP_vector_typeIfLj4EES7_SJ_SE_EEvSA_SG_RKT3_T4_EUlidE0_EEvlNS_15PhiloxCudaStateESF_SG_
    .private_segment_fixed_size: 0
    .sgpr_count:     73
    .sgpr_spill_count: 0
    .symbol:         _ZN2at6native12_GLOBAL__N_143distribution_elementwise_grid_stride_kernelIdLi2EZNS0_9templates4cuda21uniform_and_transformIddPNS_17CUDAGeneratorImplEZZZNS4_14uniform_kernelIS7_EEvRNS_18TensorIteratorBaseEddT_ENKUlvE_clEvENKUlvE_clEvEUldE_EEvSA_T1_T2_EUlP25hiprandStatePhilox4_32_10E0_ZNS1_27distribution_nullary_kernelIdd15HIP_vector_typeIfLj4EES7_SJ_SE_EEvSA_SG_RKT3_T4_EUlidE0_EEvlNS_15PhiloxCudaStateESF_SG_.kd
    .uniform_work_group_size: 1
    .uses_dynamic_stack: false
    .vgpr_count:     42
    .vgpr_spill_count: 0
    .wavefront_size: 64
  - .agpr_count:     0
    .args:
      - .offset:         0
        .size:           8
        .value_kind:     by_value
      - .offset:         8
        .size:           32
        .value_kind:     by_value
      - .offset:         40
        .size:           1
        .value_kind:     by_value
      - .offset:         48
        .size:           24
        .value_kind:     by_value
      - .offset:         72
        .size:           4
        .value_kind:     hidden_block_count_x
      - .offset:         76
        .size:           4
        .value_kind:     hidden_block_count_y
      - .offset:         80
        .size:           4
        .value_kind:     hidden_block_count_z
      - .offset:         84
        .size:           2
        .value_kind:     hidden_group_size_x
      - .offset:         86
        .size:           2
        .value_kind:     hidden_group_size_y
      - .offset:         88
        .size:           2
        .value_kind:     hidden_group_size_z
      - .offset:         90
        .size:           2
        .value_kind:     hidden_remainder_x
      - .offset:         92
        .size:           2
        .value_kind:     hidden_remainder_y
      - .offset:         94
        .size:           2
        .value_kind:     hidden_remainder_z
      - .offset:         112
        .size:           8
        .value_kind:     hidden_global_offset_x
      - .offset:         120
        .size:           8
        .value_kind:     hidden_global_offset_y
      - .offset:         128
        .size:           8
        .value_kind:     hidden_global_offset_z
      - .offset:         136
        .size:           2
        .value_kind:     hidden_grid_dims
    .group_segment_fixed_size: 0
    .kernarg_segment_align: 8
    .kernarg_segment_size: 328
    .language:       OpenCL C
    .language_version:
      - 2
      - 0
    .max_flat_workgroup_size: 256
    .name:           _ZN2at6native12_GLOBAL__N_143distribution_elementwise_grid_stride_kernelIfLi4EZNS0_9templates4cuda21uniform_and_transformIffPNS_17CUDAGeneratorImplEZZZNS4_14uniform_kernelIS7_EEvRNS_18TensorIteratorBaseEddT_ENKUlvE_clEvENKUlvE0_clEvEUlfE_EEvSA_T1_T2_EUlP25hiprandStatePhilox4_32_10E_ZNS1_27distribution_nullary_kernelIff15HIP_vector_typeIdLj2EES7_SJ_SE_EEvSA_SG_RKT3_T4_EUlifE_EEvlNS_15PhiloxCudaStateESF_SG_
    .private_segment_fixed_size: 0
    .sgpr_count:     28
    .sgpr_spill_count: 0
    .symbol:         _ZN2at6native12_GLOBAL__N_143distribution_elementwise_grid_stride_kernelIfLi4EZNS0_9templates4cuda21uniform_and_transformIffPNS_17CUDAGeneratorImplEZZZNS4_14uniform_kernelIS7_EEvRNS_18TensorIteratorBaseEddT_ENKUlvE_clEvENKUlvE0_clEvEUlfE_EEvSA_T1_T2_EUlP25hiprandStatePhilox4_32_10E_ZNS1_27distribution_nullary_kernelIff15HIP_vector_typeIdLj2EES7_SJ_SE_EEvSA_SG_RKT3_T4_EUlifE_EEvlNS_15PhiloxCudaStateESF_SG_.kd
    .uniform_work_group_size: 1
    .uses_dynamic_stack: false
    .vgpr_count:     46
    .vgpr_spill_count: 0
    .wavefront_size: 64
  - .agpr_count:     0
    .args:
      - .offset:         0
        .size:           8
        .value_kind:     by_value
      - .offset:         8
        .size:           32
        .value_kind:     by_value
      - .offset:         40
        .size:           1
        .value_kind:     by_value
      - .offset:         48
        .size:           288
        .value_kind:     by_value
      - .offset:         336
        .size:           4
        .value_kind:     hidden_block_count_x
      - .offset:         340
        .size:           4
        .value_kind:     hidden_block_count_y
      - .offset:         344
        .size:           4
        .value_kind:     hidden_block_count_z
      - .offset:         348
        .size:           2
        .value_kind:     hidden_group_size_x
      - .offset:         350
        .size:           2
        .value_kind:     hidden_group_size_y
      - .offset:         352
        .size:           2
        .value_kind:     hidden_group_size_z
      - .offset:         354
        .size:           2
        .value_kind:     hidden_remainder_x
      - .offset:         356
        .size:           2
        .value_kind:     hidden_remainder_y
      - .offset:         358
        .size:           2
        .value_kind:     hidden_remainder_z
      - .offset:         376
        .size:           8
        .value_kind:     hidden_global_offset_x
      - .offset:         384
        .size:           8
        .value_kind:     hidden_global_offset_y
      - .offset:         392
        .size:           8
        .value_kind:     hidden_global_offset_z
      - .offset:         400
        .size:           2
        .value_kind:     hidden_grid_dims
    .group_segment_fixed_size: 0
    .kernarg_segment_align: 8
    .kernarg_segment_size: 592
    .language:       OpenCL C
    .language_version:
      - 2
      - 0
    .max_flat_workgroup_size: 256
    .name:           _ZN2at6native12_GLOBAL__N_143distribution_elementwise_grid_stride_kernelIfLi4EZNS0_9templates4cuda21uniform_and_transformIffPNS_17CUDAGeneratorImplEZZZNS4_14uniform_kernelIS7_EEvRNS_18TensorIteratorBaseEddT_ENKUlvE_clEvENKUlvE0_clEvEUlfE_EEvSA_T1_T2_EUlP25hiprandStatePhilox4_32_10E_ZNS1_27distribution_nullary_kernelIff15HIP_vector_typeIdLj2EES7_SJ_SE_EEvSA_SG_RKT3_T4_EUlifE0_EEvlNS_15PhiloxCudaStateESF_SG_
    .private_segment_fixed_size: 0
    .sgpr_count:     70
    .sgpr_spill_count: 0
    .symbol:         _ZN2at6native12_GLOBAL__N_143distribution_elementwise_grid_stride_kernelIfLi4EZNS0_9templates4cuda21uniform_and_transformIffPNS_17CUDAGeneratorImplEZZZNS4_14uniform_kernelIS7_EEvRNS_18TensorIteratorBaseEddT_ENKUlvE_clEvENKUlvE0_clEvEUlfE_EEvSA_T1_T2_EUlP25hiprandStatePhilox4_32_10E_ZNS1_27distribution_nullary_kernelIff15HIP_vector_typeIdLj2EES7_SJ_SE_EEvSA_SG_RKT3_T4_EUlifE0_EEvlNS_15PhiloxCudaStateESF_SG_.kd
    .uniform_work_group_size: 1
    .uses_dynamic_stack: false
    .vgpr_count:     41
    .vgpr_spill_count: 0
    .wavefront_size: 64
  - .agpr_count:     0
    .args:
      - .offset:         0
        .size:           8
        .value_kind:     by_value
      - .offset:         8
        .size:           32
        .value_kind:     by_value
      - .offset:         40
        .size:           1
        .value_kind:     by_value
      - .offset:         48
        .size:           24
        .value_kind:     by_value
      - .offset:         72
        .size:           4
        .value_kind:     hidden_block_count_x
      - .offset:         76
        .size:           4
        .value_kind:     hidden_block_count_y
      - .offset:         80
        .size:           4
        .value_kind:     hidden_block_count_z
      - .offset:         84
        .size:           2
        .value_kind:     hidden_group_size_x
      - .offset:         86
        .size:           2
        .value_kind:     hidden_group_size_y
      - .offset:         88
        .size:           2
        .value_kind:     hidden_group_size_z
      - .offset:         90
        .size:           2
        .value_kind:     hidden_remainder_x
      - .offset:         92
        .size:           2
        .value_kind:     hidden_remainder_y
      - .offset:         94
        .size:           2
        .value_kind:     hidden_remainder_z
      - .offset:         112
        .size:           8
        .value_kind:     hidden_global_offset_x
      - .offset:         120
        .size:           8
        .value_kind:     hidden_global_offset_y
      - .offset:         128
        .size:           8
        .value_kind:     hidden_global_offset_z
      - .offset:         136
        .size:           2
        .value_kind:     hidden_grid_dims
    .group_segment_fixed_size: 0
    .kernarg_segment_align: 8
    .kernarg_segment_size: 328
    .language:       OpenCL C
    .language_version:
      - 2
      - 0
    .max_flat_workgroup_size: 256
    .name:           _ZN2at6native12_GLOBAL__N_143distribution_elementwise_grid_stride_kernelIfLi4EZNS0_9templates4cuda21uniform_and_transformIffPNS_17CUDAGeneratorImplEZZZNS4_14uniform_kernelIS7_EEvRNS_18TensorIteratorBaseEddT_ENKUlvE_clEvENKUlvE0_clEvEUlfE_EEvSA_T1_T2_EUlP25hiprandStatePhilox4_32_10E0_ZNS1_27distribution_nullary_kernelIff15HIP_vector_typeIfLj4EES7_SJ_SE_EEvSA_SG_RKT3_T4_EUlifE_EEvlNS_15PhiloxCudaStateESF_SG_
    .private_segment_fixed_size: 0
    .sgpr_count:     30
    .sgpr_spill_count: 0
    .symbol:         _ZN2at6native12_GLOBAL__N_143distribution_elementwise_grid_stride_kernelIfLi4EZNS0_9templates4cuda21uniform_and_transformIffPNS_17CUDAGeneratorImplEZZZNS4_14uniform_kernelIS7_EEvRNS_18TensorIteratorBaseEddT_ENKUlvE_clEvENKUlvE0_clEvEUlfE_EEvSA_T1_T2_EUlP25hiprandStatePhilox4_32_10E0_ZNS1_27distribution_nullary_kernelIff15HIP_vector_typeIfLj4EES7_SJ_SE_EEvSA_SG_RKT3_T4_EUlifE_EEvlNS_15PhiloxCudaStateESF_SG_.kd
    .uniform_work_group_size: 1
    .uses_dynamic_stack: false
    .vgpr_count:     48
    .vgpr_spill_count: 0
    .wavefront_size: 64
  - .agpr_count:     0
    .args:
      - .offset:         0
        .size:           8
        .value_kind:     by_value
      - .offset:         8
        .size:           32
        .value_kind:     by_value
      - .offset:         40
        .size:           1
        .value_kind:     by_value
      - .offset:         48
        .size:           288
        .value_kind:     by_value
      - .offset:         336
        .size:           4
        .value_kind:     hidden_block_count_x
      - .offset:         340
        .size:           4
        .value_kind:     hidden_block_count_y
      - .offset:         344
        .size:           4
        .value_kind:     hidden_block_count_z
      - .offset:         348
        .size:           2
        .value_kind:     hidden_group_size_x
      - .offset:         350
        .size:           2
        .value_kind:     hidden_group_size_y
      - .offset:         352
        .size:           2
        .value_kind:     hidden_group_size_z
      - .offset:         354
        .size:           2
        .value_kind:     hidden_remainder_x
      - .offset:         356
        .size:           2
        .value_kind:     hidden_remainder_y
      - .offset:         358
        .size:           2
        .value_kind:     hidden_remainder_z
      - .offset:         376
        .size:           8
        .value_kind:     hidden_global_offset_x
      - .offset:         384
        .size:           8
        .value_kind:     hidden_global_offset_y
      - .offset:         392
        .size:           8
        .value_kind:     hidden_global_offset_z
      - .offset:         400
        .size:           2
        .value_kind:     hidden_grid_dims
    .group_segment_fixed_size: 0
    .kernarg_segment_align: 8
    .kernarg_segment_size: 592
    .language:       OpenCL C
    .language_version:
      - 2
      - 0
    .max_flat_workgroup_size: 256
    .name:           _ZN2at6native12_GLOBAL__N_143distribution_elementwise_grid_stride_kernelIfLi4EZNS0_9templates4cuda21uniform_and_transformIffPNS_17CUDAGeneratorImplEZZZNS4_14uniform_kernelIS7_EEvRNS_18TensorIteratorBaseEddT_ENKUlvE_clEvENKUlvE0_clEvEUlfE_EEvSA_T1_T2_EUlP25hiprandStatePhilox4_32_10E0_ZNS1_27distribution_nullary_kernelIff15HIP_vector_typeIfLj4EES7_SJ_SE_EEvSA_SG_RKT3_T4_EUlifE0_EEvlNS_15PhiloxCudaStateESF_SG_
    .private_segment_fixed_size: 0
    .sgpr_count:     74
    .sgpr_spill_count: 0
    .symbol:         _ZN2at6native12_GLOBAL__N_143distribution_elementwise_grid_stride_kernelIfLi4EZNS0_9templates4cuda21uniform_and_transformIffPNS_17CUDAGeneratorImplEZZZNS4_14uniform_kernelIS7_EEvRNS_18TensorIteratorBaseEddT_ENKUlvE_clEvENKUlvE0_clEvEUlfE_EEvSA_T1_T2_EUlP25hiprandStatePhilox4_32_10E0_ZNS1_27distribution_nullary_kernelIff15HIP_vector_typeIfLj4EES7_SJ_SE_EEvSA_SG_RKT3_T4_EUlifE0_EEvlNS_15PhiloxCudaStateESF_SG_.kd
    .uniform_work_group_size: 1
    .uses_dynamic_stack: false
    .vgpr_count:     41
    .vgpr_spill_count: 0
    .wavefront_size: 64
  - .agpr_count:     0
    .args:
      - .offset:         0
        .size:           8
        .value_kind:     by_value
      - .offset:         8
        .size:           32
        .value_kind:     by_value
      - .offset:         40
        .size:           1
        .value_kind:     by_value
      - .offset:         48
        .size:           24
        .value_kind:     by_value
      - .offset:         72
        .size:           4
        .value_kind:     hidden_block_count_x
      - .offset:         76
        .size:           4
        .value_kind:     hidden_block_count_y
      - .offset:         80
        .size:           4
        .value_kind:     hidden_block_count_z
      - .offset:         84
        .size:           2
        .value_kind:     hidden_group_size_x
      - .offset:         86
        .size:           2
        .value_kind:     hidden_group_size_y
      - .offset:         88
        .size:           2
        .value_kind:     hidden_group_size_z
      - .offset:         90
        .size:           2
        .value_kind:     hidden_remainder_x
      - .offset:         92
        .size:           2
        .value_kind:     hidden_remainder_y
      - .offset:         94
        .size:           2
        .value_kind:     hidden_remainder_z
      - .offset:         112
        .size:           8
        .value_kind:     hidden_global_offset_x
      - .offset:         120
        .size:           8
        .value_kind:     hidden_global_offset_y
      - .offset:         128
        .size:           8
        .value_kind:     hidden_global_offset_z
      - .offset:         136
        .size:           2
        .value_kind:     hidden_grid_dims
    .group_segment_fixed_size: 0
    .kernarg_segment_align: 8
    .kernarg_segment_size: 328
    .language:       OpenCL C
    .language_version:
      - 2
      - 0
    .max_flat_workgroup_size: 256
    .name:           _ZN2at6native12_GLOBAL__N_143distribution_elementwise_grid_stride_kernelIfLi4EZNS0_9templates4cuda21uniform_and_transformIN3c104HalfEfPNS_17CUDAGeneratorImplEZZZNS4_14uniform_kernelIS9_EEvRNS_18TensorIteratorBaseEddT_ENKUlvE_clEvENKUlvE1_clEvEUlfE_EEvSC_T1_T2_EUlP25hiprandStatePhilox4_32_10E_ZNS1_27distribution_nullary_kernelIS7_f15HIP_vector_typeIdLj2EES9_SL_SG_EEvSC_SI_RKT3_T4_EUlifE_EEvlNS_15PhiloxCudaStateESH_SI_
    .private_segment_fixed_size: 0
    .sgpr_count:     28
    .sgpr_spill_count: 0
    .symbol:         _ZN2at6native12_GLOBAL__N_143distribution_elementwise_grid_stride_kernelIfLi4EZNS0_9templates4cuda21uniform_and_transformIN3c104HalfEfPNS_17CUDAGeneratorImplEZZZNS4_14uniform_kernelIS9_EEvRNS_18TensorIteratorBaseEddT_ENKUlvE_clEvENKUlvE1_clEvEUlfE_EEvSC_T1_T2_EUlP25hiprandStatePhilox4_32_10E_ZNS1_27distribution_nullary_kernelIS7_f15HIP_vector_typeIdLj2EES9_SL_SG_EEvSC_SI_RKT3_T4_EUlifE_EEvlNS_15PhiloxCudaStateESH_SI_.kd
    .uniform_work_group_size: 1
    .uses_dynamic_stack: false
    .vgpr_count:     46
    .vgpr_spill_count: 0
    .wavefront_size: 64
  - .agpr_count:     0
    .args:
      - .offset:         0
        .size:           8
        .value_kind:     by_value
      - .offset:         8
        .size:           32
        .value_kind:     by_value
      - .offset:         40
        .size:           1
        .value_kind:     by_value
      - .offset:         48
        .size:           280
        .value_kind:     by_value
      - .offset:         328
        .size:           4
        .value_kind:     hidden_block_count_x
      - .offset:         332
        .size:           4
        .value_kind:     hidden_block_count_y
      - .offset:         336
        .size:           4
        .value_kind:     hidden_block_count_z
      - .offset:         340
        .size:           2
        .value_kind:     hidden_group_size_x
      - .offset:         342
        .size:           2
        .value_kind:     hidden_group_size_y
      - .offset:         344
        .size:           2
        .value_kind:     hidden_group_size_z
      - .offset:         346
        .size:           2
        .value_kind:     hidden_remainder_x
      - .offset:         348
        .size:           2
        .value_kind:     hidden_remainder_y
      - .offset:         350
        .size:           2
        .value_kind:     hidden_remainder_z
      - .offset:         368
        .size:           8
        .value_kind:     hidden_global_offset_x
      - .offset:         376
        .size:           8
        .value_kind:     hidden_global_offset_y
      - .offset:         384
        .size:           8
        .value_kind:     hidden_global_offset_z
      - .offset:         392
        .size:           2
        .value_kind:     hidden_grid_dims
    .group_segment_fixed_size: 0
    .kernarg_segment_align: 8
    .kernarg_segment_size: 584
    .language:       OpenCL C
    .language_version:
      - 2
      - 0
    .max_flat_workgroup_size: 256
    .name:           _ZN2at6native12_GLOBAL__N_143distribution_elementwise_grid_stride_kernelIfLi4EZNS0_9templates4cuda21uniform_and_transformIN3c104HalfEfPNS_17CUDAGeneratorImplEZZZNS4_14uniform_kernelIS9_EEvRNS_18TensorIteratorBaseEddT_ENKUlvE_clEvENKUlvE1_clEvEUlfE_EEvSC_T1_T2_EUlP25hiprandStatePhilox4_32_10E_ZNS1_27distribution_nullary_kernelIS7_f15HIP_vector_typeIdLj2EES9_SL_SG_EEvSC_SI_RKT3_T4_EUlifE0_EEvlNS_15PhiloxCudaStateESH_SI_
    .private_segment_fixed_size: 0
    .sgpr_count:     70
    .sgpr_spill_count: 0
    .symbol:         _ZN2at6native12_GLOBAL__N_143distribution_elementwise_grid_stride_kernelIfLi4EZNS0_9templates4cuda21uniform_and_transformIN3c104HalfEfPNS_17CUDAGeneratorImplEZZZNS4_14uniform_kernelIS9_EEvRNS_18TensorIteratorBaseEddT_ENKUlvE_clEvENKUlvE1_clEvEUlfE_EEvSC_T1_T2_EUlP25hiprandStatePhilox4_32_10E_ZNS1_27distribution_nullary_kernelIS7_f15HIP_vector_typeIdLj2EES9_SL_SG_EEvSC_SI_RKT3_T4_EUlifE0_EEvlNS_15PhiloxCudaStateESH_SI_.kd
    .uniform_work_group_size: 1
    .uses_dynamic_stack: false
    .vgpr_count:     42
    .vgpr_spill_count: 0
    .wavefront_size: 64
  - .agpr_count:     0
    .args:
      - .offset:         0
        .size:           8
        .value_kind:     by_value
      - .offset:         8
        .size:           32
        .value_kind:     by_value
      - .offset:         40
        .size:           1
        .value_kind:     by_value
      - .offset:         48
        .size:           24
        .value_kind:     by_value
      - .offset:         72
        .size:           4
        .value_kind:     hidden_block_count_x
      - .offset:         76
        .size:           4
        .value_kind:     hidden_block_count_y
      - .offset:         80
        .size:           4
        .value_kind:     hidden_block_count_z
      - .offset:         84
        .size:           2
        .value_kind:     hidden_group_size_x
      - .offset:         86
        .size:           2
        .value_kind:     hidden_group_size_y
      - .offset:         88
        .size:           2
        .value_kind:     hidden_group_size_z
      - .offset:         90
        .size:           2
        .value_kind:     hidden_remainder_x
      - .offset:         92
        .size:           2
        .value_kind:     hidden_remainder_y
      - .offset:         94
        .size:           2
        .value_kind:     hidden_remainder_z
      - .offset:         112
        .size:           8
        .value_kind:     hidden_global_offset_x
      - .offset:         120
        .size:           8
        .value_kind:     hidden_global_offset_y
      - .offset:         128
        .size:           8
        .value_kind:     hidden_global_offset_z
      - .offset:         136
        .size:           2
        .value_kind:     hidden_grid_dims
    .group_segment_fixed_size: 0
    .kernarg_segment_align: 8
    .kernarg_segment_size: 328
    .language:       OpenCL C
    .language_version:
      - 2
      - 0
    .max_flat_workgroup_size: 256
    .name:           _ZN2at6native12_GLOBAL__N_143distribution_elementwise_grid_stride_kernelIfLi4EZNS0_9templates4cuda21uniform_and_transformIN3c104HalfEfPNS_17CUDAGeneratorImplEZZZNS4_14uniform_kernelIS9_EEvRNS_18TensorIteratorBaseEddT_ENKUlvE_clEvENKUlvE1_clEvEUlfE_EEvSC_T1_T2_EUlP25hiprandStatePhilox4_32_10E0_ZNS1_27distribution_nullary_kernelIS7_f15HIP_vector_typeIfLj4EES9_SL_SG_EEvSC_SI_RKT3_T4_EUlifE_EEvlNS_15PhiloxCudaStateESH_SI_
    .private_segment_fixed_size: 0
    .sgpr_count:     30
    .sgpr_spill_count: 0
    .symbol:         _ZN2at6native12_GLOBAL__N_143distribution_elementwise_grid_stride_kernelIfLi4EZNS0_9templates4cuda21uniform_and_transformIN3c104HalfEfPNS_17CUDAGeneratorImplEZZZNS4_14uniform_kernelIS9_EEvRNS_18TensorIteratorBaseEddT_ENKUlvE_clEvENKUlvE1_clEvEUlfE_EEvSC_T1_T2_EUlP25hiprandStatePhilox4_32_10E0_ZNS1_27distribution_nullary_kernelIS7_f15HIP_vector_typeIfLj4EES9_SL_SG_EEvSC_SI_RKT3_T4_EUlifE_EEvlNS_15PhiloxCudaStateESH_SI_.kd
    .uniform_work_group_size: 1
    .uses_dynamic_stack: false
    .vgpr_count:     48
    .vgpr_spill_count: 0
    .wavefront_size: 64
  - .agpr_count:     0
    .args:
      - .offset:         0
        .size:           8
        .value_kind:     by_value
      - .offset:         8
        .size:           32
        .value_kind:     by_value
      - .offset:         40
        .size:           1
        .value_kind:     by_value
      - .offset:         48
        .size:           280
        .value_kind:     by_value
      - .offset:         328
        .size:           4
        .value_kind:     hidden_block_count_x
      - .offset:         332
        .size:           4
        .value_kind:     hidden_block_count_y
      - .offset:         336
        .size:           4
        .value_kind:     hidden_block_count_z
      - .offset:         340
        .size:           2
        .value_kind:     hidden_group_size_x
      - .offset:         342
        .size:           2
        .value_kind:     hidden_group_size_y
      - .offset:         344
        .size:           2
        .value_kind:     hidden_group_size_z
      - .offset:         346
        .size:           2
        .value_kind:     hidden_remainder_x
      - .offset:         348
        .size:           2
        .value_kind:     hidden_remainder_y
      - .offset:         350
        .size:           2
        .value_kind:     hidden_remainder_z
      - .offset:         368
        .size:           8
        .value_kind:     hidden_global_offset_x
      - .offset:         376
        .size:           8
        .value_kind:     hidden_global_offset_y
      - .offset:         384
        .size:           8
        .value_kind:     hidden_global_offset_z
      - .offset:         392
        .size:           2
        .value_kind:     hidden_grid_dims
    .group_segment_fixed_size: 0
    .kernarg_segment_align: 8
    .kernarg_segment_size: 584
    .language:       OpenCL C
    .language_version:
      - 2
      - 0
    .max_flat_workgroup_size: 256
    .name:           _ZN2at6native12_GLOBAL__N_143distribution_elementwise_grid_stride_kernelIfLi4EZNS0_9templates4cuda21uniform_and_transformIN3c104HalfEfPNS_17CUDAGeneratorImplEZZZNS4_14uniform_kernelIS9_EEvRNS_18TensorIteratorBaseEddT_ENKUlvE_clEvENKUlvE1_clEvEUlfE_EEvSC_T1_T2_EUlP25hiprandStatePhilox4_32_10E0_ZNS1_27distribution_nullary_kernelIS7_f15HIP_vector_typeIfLj4EES9_SL_SG_EEvSC_SI_RKT3_T4_EUlifE0_EEvlNS_15PhiloxCudaStateESH_SI_
    .private_segment_fixed_size: 0
    .sgpr_count:     74
    .sgpr_spill_count: 0
    .symbol:         _ZN2at6native12_GLOBAL__N_143distribution_elementwise_grid_stride_kernelIfLi4EZNS0_9templates4cuda21uniform_and_transformIN3c104HalfEfPNS_17CUDAGeneratorImplEZZZNS4_14uniform_kernelIS9_EEvRNS_18TensorIteratorBaseEddT_ENKUlvE_clEvENKUlvE1_clEvEUlfE_EEvSC_T1_T2_EUlP25hiprandStatePhilox4_32_10E0_ZNS1_27distribution_nullary_kernelIS7_f15HIP_vector_typeIfLj4EES9_SL_SG_EEvSC_SI_RKT3_T4_EUlifE0_EEvlNS_15PhiloxCudaStateESH_SI_.kd
    .uniform_work_group_size: 1
    .uses_dynamic_stack: false
    .vgpr_count:     42
    .vgpr_spill_count: 0
    .wavefront_size: 64
  - .agpr_count:     0
    .args:
      - .offset:         0
        .size:           8
        .value_kind:     by_value
      - .offset:         8
        .size:           32
        .value_kind:     by_value
      - .offset:         40
        .size:           1
        .value_kind:     by_value
      - .offset:         48
        .size:           24
        .value_kind:     by_value
      - .offset:         72
        .size:           4
        .value_kind:     hidden_block_count_x
      - .offset:         76
        .size:           4
        .value_kind:     hidden_block_count_y
      - .offset:         80
        .size:           4
        .value_kind:     hidden_block_count_z
      - .offset:         84
        .size:           2
        .value_kind:     hidden_group_size_x
      - .offset:         86
        .size:           2
        .value_kind:     hidden_group_size_y
      - .offset:         88
        .size:           2
        .value_kind:     hidden_group_size_z
      - .offset:         90
        .size:           2
        .value_kind:     hidden_remainder_x
      - .offset:         92
        .size:           2
        .value_kind:     hidden_remainder_y
      - .offset:         94
        .size:           2
        .value_kind:     hidden_remainder_z
      - .offset:         112
        .size:           8
        .value_kind:     hidden_global_offset_x
      - .offset:         120
        .size:           8
        .value_kind:     hidden_global_offset_y
      - .offset:         128
        .size:           8
        .value_kind:     hidden_global_offset_z
      - .offset:         136
        .size:           2
        .value_kind:     hidden_grid_dims
    .group_segment_fixed_size: 0
    .kernarg_segment_align: 8
    .kernarg_segment_size: 328
    .language:       OpenCL C
    .language_version:
      - 2
      - 0
    .max_flat_workgroup_size: 256
    .name:           _ZN2at6native12_GLOBAL__N_143distribution_elementwise_grid_stride_kernelIfLi4EZNS0_9templates4cuda21uniform_and_transformIN3c108BFloat16EfPNS_17CUDAGeneratorImplEZZZNS4_14uniform_kernelIS9_EEvRNS_18TensorIteratorBaseEddT_ENKUlvE_clEvENKUlvE2_clEvEUlfE_EEvSC_T1_T2_EUlP25hiprandStatePhilox4_32_10E_ZNS1_27distribution_nullary_kernelIS7_f15HIP_vector_typeIdLj2EES9_SL_SG_EEvSC_SI_RKT3_T4_EUlifE_EEvlNS_15PhiloxCudaStateESH_SI_
    .private_segment_fixed_size: 0
    .sgpr_count:     28
    .sgpr_spill_count: 0
    .symbol:         _ZN2at6native12_GLOBAL__N_143distribution_elementwise_grid_stride_kernelIfLi4EZNS0_9templates4cuda21uniform_and_transformIN3c108BFloat16EfPNS_17CUDAGeneratorImplEZZZNS4_14uniform_kernelIS9_EEvRNS_18TensorIteratorBaseEddT_ENKUlvE_clEvENKUlvE2_clEvEUlfE_EEvSC_T1_T2_EUlP25hiprandStatePhilox4_32_10E_ZNS1_27distribution_nullary_kernelIS7_f15HIP_vector_typeIdLj2EES9_SL_SG_EEvSC_SI_RKT3_T4_EUlifE_EEvlNS_15PhiloxCudaStateESH_SI_.kd
    .uniform_work_group_size: 1
    .uses_dynamic_stack: false
    .vgpr_count:     46
    .vgpr_spill_count: 0
    .wavefront_size: 64
  - .agpr_count:     0
    .args:
      - .offset:         0
        .size:           8
        .value_kind:     by_value
      - .offset:         8
        .size:           32
        .value_kind:     by_value
      - .offset:         40
        .size:           1
        .value_kind:     by_value
      - .offset:         48
        .size:           280
        .value_kind:     by_value
      - .offset:         328
        .size:           4
        .value_kind:     hidden_block_count_x
      - .offset:         332
        .size:           4
        .value_kind:     hidden_block_count_y
      - .offset:         336
        .size:           4
        .value_kind:     hidden_block_count_z
      - .offset:         340
        .size:           2
        .value_kind:     hidden_group_size_x
      - .offset:         342
        .size:           2
        .value_kind:     hidden_group_size_y
      - .offset:         344
        .size:           2
        .value_kind:     hidden_group_size_z
      - .offset:         346
        .size:           2
        .value_kind:     hidden_remainder_x
      - .offset:         348
        .size:           2
        .value_kind:     hidden_remainder_y
      - .offset:         350
        .size:           2
        .value_kind:     hidden_remainder_z
      - .offset:         368
        .size:           8
        .value_kind:     hidden_global_offset_x
      - .offset:         376
        .size:           8
        .value_kind:     hidden_global_offset_y
      - .offset:         384
        .size:           8
        .value_kind:     hidden_global_offset_z
      - .offset:         392
        .size:           2
        .value_kind:     hidden_grid_dims
    .group_segment_fixed_size: 0
    .kernarg_segment_align: 8
    .kernarg_segment_size: 584
    .language:       OpenCL C
    .language_version:
      - 2
      - 0
    .max_flat_workgroup_size: 256
    .name:           _ZN2at6native12_GLOBAL__N_143distribution_elementwise_grid_stride_kernelIfLi4EZNS0_9templates4cuda21uniform_and_transformIN3c108BFloat16EfPNS_17CUDAGeneratorImplEZZZNS4_14uniform_kernelIS9_EEvRNS_18TensorIteratorBaseEddT_ENKUlvE_clEvENKUlvE2_clEvEUlfE_EEvSC_T1_T2_EUlP25hiprandStatePhilox4_32_10E_ZNS1_27distribution_nullary_kernelIS7_f15HIP_vector_typeIdLj2EES9_SL_SG_EEvSC_SI_RKT3_T4_EUlifE0_EEvlNS_15PhiloxCudaStateESH_SI_
    .private_segment_fixed_size: 0
    .sgpr_count:     72
    .sgpr_spill_count: 0
    .symbol:         _ZN2at6native12_GLOBAL__N_143distribution_elementwise_grid_stride_kernelIfLi4EZNS0_9templates4cuda21uniform_and_transformIN3c108BFloat16EfPNS_17CUDAGeneratorImplEZZZNS4_14uniform_kernelIS9_EEvRNS_18TensorIteratorBaseEddT_ENKUlvE_clEvENKUlvE2_clEvEUlfE_EEvSC_T1_T2_EUlP25hiprandStatePhilox4_32_10E_ZNS1_27distribution_nullary_kernelIS7_f15HIP_vector_typeIdLj2EES9_SL_SG_EEvSC_SI_RKT3_T4_EUlifE0_EEvlNS_15PhiloxCudaStateESH_SI_.kd
    .uniform_work_group_size: 1
    .uses_dynamic_stack: false
    .vgpr_count:     42
    .vgpr_spill_count: 0
    .wavefront_size: 64
  - .agpr_count:     0
    .args:
      - .offset:         0
        .size:           8
        .value_kind:     by_value
      - .offset:         8
        .size:           32
        .value_kind:     by_value
      - .offset:         40
        .size:           1
        .value_kind:     by_value
      - .offset:         48
        .size:           24
        .value_kind:     by_value
      - .offset:         72
        .size:           4
        .value_kind:     hidden_block_count_x
      - .offset:         76
        .size:           4
        .value_kind:     hidden_block_count_y
      - .offset:         80
        .size:           4
        .value_kind:     hidden_block_count_z
      - .offset:         84
        .size:           2
        .value_kind:     hidden_group_size_x
      - .offset:         86
        .size:           2
        .value_kind:     hidden_group_size_y
      - .offset:         88
        .size:           2
        .value_kind:     hidden_group_size_z
      - .offset:         90
        .size:           2
        .value_kind:     hidden_remainder_x
      - .offset:         92
        .size:           2
        .value_kind:     hidden_remainder_y
      - .offset:         94
        .size:           2
        .value_kind:     hidden_remainder_z
      - .offset:         112
        .size:           8
        .value_kind:     hidden_global_offset_x
      - .offset:         120
        .size:           8
        .value_kind:     hidden_global_offset_y
      - .offset:         128
        .size:           8
        .value_kind:     hidden_global_offset_z
      - .offset:         136
        .size:           2
        .value_kind:     hidden_grid_dims
    .group_segment_fixed_size: 0
    .kernarg_segment_align: 8
    .kernarg_segment_size: 328
    .language:       OpenCL C
    .language_version:
      - 2
      - 0
    .max_flat_workgroup_size: 256
    .name:           _ZN2at6native12_GLOBAL__N_143distribution_elementwise_grid_stride_kernelIfLi4EZNS0_9templates4cuda21uniform_and_transformIN3c108BFloat16EfPNS_17CUDAGeneratorImplEZZZNS4_14uniform_kernelIS9_EEvRNS_18TensorIteratorBaseEddT_ENKUlvE_clEvENKUlvE2_clEvEUlfE_EEvSC_T1_T2_EUlP25hiprandStatePhilox4_32_10E0_ZNS1_27distribution_nullary_kernelIS7_f15HIP_vector_typeIfLj4EES9_SL_SG_EEvSC_SI_RKT3_T4_EUlifE_EEvlNS_15PhiloxCudaStateESH_SI_
    .private_segment_fixed_size: 0
    .sgpr_count:     32
    .sgpr_spill_count: 0
    .symbol:         _ZN2at6native12_GLOBAL__N_143distribution_elementwise_grid_stride_kernelIfLi4EZNS0_9templates4cuda21uniform_and_transformIN3c108BFloat16EfPNS_17CUDAGeneratorImplEZZZNS4_14uniform_kernelIS9_EEvRNS_18TensorIteratorBaseEddT_ENKUlvE_clEvENKUlvE2_clEvEUlfE_EEvSC_T1_T2_EUlP25hiprandStatePhilox4_32_10E0_ZNS1_27distribution_nullary_kernelIS7_f15HIP_vector_typeIfLj4EES9_SL_SG_EEvSC_SI_RKT3_T4_EUlifE_EEvlNS_15PhiloxCudaStateESH_SI_.kd
    .uniform_work_group_size: 1
    .uses_dynamic_stack: false
    .vgpr_count:     48
    .vgpr_spill_count: 0
    .wavefront_size: 64
  - .agpr_count:     0
    .args:
      - .offset:         0
        .size:           8
        .value_kind:     by_value
      - .offset:         8
        .size:           32
        .value_kind:     by_value
      - .offset:         40
        .size:           1
        .value_kind:     by_value
      - .offset:         48
        .size:           280
        .value_kind:     by_value
      - .offset:         328
        .size:           4
        .value_kind:     hidden_block_count_x
      - .offset:         332
        .size:           4
        .value_kind:     hidden_block_count_y
      - .offset:         336
        .size:           4
        .value_kind:     hidden_block_count_z
      - .offset:         340
        .size:           2
        .value_kind:     hidden_group_size_x
      - .offset:         342
        .size:           2
        .value_kind:     hidden_group_size_y
      - .offset:         344
        .size:           2
        .value_kind:     hidden_group_size_z
      - .offset:         346
        .size:           2
        .value_kind:     hidden_remainder_x
      - .offset:         348
        .size:           2
        .value_kind:     hidden_remainder_y
      - .offset:         350
        .size:           2
        .value_kind:     hidden_remainder_z
      - .offset:         368
        .size:           8
        .value_kind:     hidden_global_offset_x
      - .offset:         376
        .size:           8
        .value_kind:     hidden_global_offset_y
      - .offset:         384
        .size:           8
        .value_kind:     hidden_global_offset_z
      - .offset:         392
        .size:           2
        .value_kind:     hidden_grid_dims
    .group_segment_fixed_size: 0
    .kernarg_segment_align: 8
    .kernarg_segment_size: 584
    .language:       OpenCL C
    .language_version:
      - 2
      - 0
    .max_flat_workgroup_size: 256
    .name:           _ZN2at6native12_GLOBAL__N_143distribution_elementwise_grid_stride_kernelIfLi4EZNS0_9templates4cuda21uniform_and_transformIN3c108BFloat16EfPNS_17CUDAGeneratorImplEZZZNS4_14uniform_kernelIS9_EEvRNS_18TensorIteratorBaseEddT_ENKUlvE_clEvENKUlvE2_clEvEUlfE_EEvSC_T1_T2_EUlP25hiprandStatePhilox4_32_10E0_ZNS1_27distribution_nullary_kernelIS7_f15HIP_vector_typeIfLj4EES9_SL_SG_EEvSC_SI_RKT3_T4_EUlifE0_EEvlNS_15PhiloxCudaStateESH_SI_
    .private_segment_fixed_size: 0
    .sgpr_count:     76
    .sgpr_spill_count: 0
    .symbol:         _ZN2at6native12_GLOBAL__N_143distribution_elementwise_grid_stride_kernelIfLi4EZNS0_9templates4cuda21uniform_and_transformIN3c108BFloat16EfPNS_17CUDAGeneratorImplEZZZNS4_14uniform_kernelIS9_EEvRNS_18TensorIteratorBaseEddT_ENKUlvE_clEvENKUlvE2_clEvEUlfE_EEvSC_T1_T2_EUlP25hiprandStatePhilox4_32_10E0_ZNS1_27distribution_nullary_kernelIS7_f15HIP_vector_typeIfLj4EES9_SL_SG_EEvSC_SI_RKT3_T4_EUlifE0_EEvlNS_15PhiloxCudaStateESH_SI_.kd
    .uniform_work_group_size: 1
    .uses_dynamic_stack: false
    .vgpr_count:     42
    .vgpr_spill_count: 0
    .wavefront_size: 64
amdhsa.target:   amdgcn-amd-amdhsa--gfx90a
amdhsa.version:
  - 1
  - 2
...

	.end_amdgpu_metadata
